;; amdgpu-corpus repo=zjin-lcf/HeCBench kind=compiled arch=gfx950 opt=O3
	.amdgcn_target "amdgcn-amd-amdhsa--gfx950"
	.amdhsa_code_object_version 6
	.text
	.protected	_Z6Match1PKfS0_PfPi     ; -- Begin function _Z6Match1PKfS0_PfPi
	.globl	_Z6Match1PKfS0_PfPi
	.p2align	8
	.type	_Z6Match1PKfS0_PfPi,@function
_Z6Match1PKfS0_PfPi:                    ; @_Z6Match1PKfS0_PfPi
; %bb.0:
	s_load_dwordx8 s[4:11], s[0:1], 0x0
	v_lshl_add_u32 v0, s2, 7, v0
	v_lshlrev_b32_e32 v2, 7, v0
	v_ashrrev_i32_e32 v3, 31, v2
	v_mov_b32_e32 v5, 0
	s_waitcnt lgkmcnt(0)
	v_lshl_add_u64 v[2:3], v[2:3], 2, s[4:5]
	v_mov_b32_e32 v4, -1
	s_mov_b32 s2, 0
.LBB0_1:                                ; =>This Loop Header: Depth=1
                                        ;     Child Loop BB0_2 Depth 2
	s_mov_b64 s[0:1], 0
	v_mov_b32_e32 v1, 0
.LBB0_2:                                ;   Parent Loop BB0_1 Depth=1
                                        ; =>  This Inner Loop Header: Depth=2
	v_lshl_add_u64 v[14:15], v[2:3], 0, s[0:1]
	global_load_dwordx4 v[6:9], v[14:15], off
	global_load_dwordx4 v[10:13], v[14:15], off offset:16
	s_add_u32 s4, s6, s0
	s_addc_u32 s5, s7, s1
	s_load_dwordx8 s[12:19], s[4:5], 0x0
	s_add_u32 s0, s0, 32
	s_addc_u32 s1, s1, 0
	s_cmpk_eq_i32 s0, 0x200
	s_waitcnt vmcnt(1) lgkmcnt(0)
	v_fmac_f32_e32 v1, s12, v6
	v_fmac_f32_e32 v1, s13, v7
	;; [unrolled: 1-line block ×4, first 2 shown]
	s_waitcnt vmcnt(0)
	v_fmac_f32_e32 v1, s16, v10
	v_fmac_f32_e32 v1, s17, v11
	;; [unrolled: 1-line block ×4, first 2 shown]
	s_cbranch_scc0 .LBB0_2
; %bb.3:                                ;   in Loop: Header=BB0_1 Depth=1
	v_cmp_gt_f32_e32 vcc, v1, v5
	s_nop 1
	v_cndmask_b32_e32 v5, v5, v1, vcc
	v_mov_b32_e32 v1, s2
	s_add_i32 s2, s2, 1
	s_add_u32 s6, s6, 0x200
	s_addc_u32 s7, s7, 0
	s_cmpk_eq_i32 s2, 0x4000
	v_cndmask_b32_e32 v4, v4, v1, vcc
	s_cbranch_scc0 .LBB0_1
; %bb.4:
	v_ashrrev_i32_e32 v1, 31, v0
	v_lshlrev_b64 v[0:1], 2, v[0:1]
	v_lshl_add_u64 v[2:3], s[8:9], 0, v[0:1]
	v_lshl_add_u64 v[0:1], s[10:11], 0, v[0:1]
	global_store_dword v[2:3], v5, off
	global_store_dword v[0:1], v4, off
	s_endpgm
	.section	.rodata,"a",@progbits
	.p2align	6, 0x0
	.amdhsa_kernel _Z6Match1PKfS0_PfPi
		.amdhsa_group_segment_fixed_size 0
		.amdhsa_private_segment_fixed_size 0
		.amdhsa_kernarg_size 32
		.amdhsa_user_sgpr_count 2
		.amdhsa_user_sgpr_dispatch_ptr 0
		.amdhsa_user_sgpr_queue_ptr 0
		.amdhsa_user_sgpr_kernarg_segment_ptr 1
		.amdhsa_user_sgpr_dispatch_id 0
		.amdhsa_user_sgpr_kernarg_preload_length 0
		.amdhsa_user_sgpr_kernarg_preload_offset 0
		.amdhsa_user_sgpr_private_segment_size 0
		.amdhsa_uses_dynamic_stack 0
		.amdhsa_enable_private_segment 0
		.amdhsa_system_sgpr_workgroup_id_x 1
		.amdhsa_system_sgpr_workgroup_id_y 0
		.amdhsa_system_sgpr_workgroup_id_z 0
		.amdhsa_system_sgpr_workgroup_info 0
		.amdhsa_system_vgpr_workitem_id 0
		.amdhsa_next_free_vgpr 16
		.amdhsa_next_free_sgpr 20
		.amdhsa_accum_offset 16
		.amdhsa_reserve_vcc 1
		.amdhsa_float_round_mode_32 0
		.amdhsa_float_round_mode_16_64 0
		.amdhsa_float_denorm_mode_32 3
		.amdhsa_float_denorm_mode_16_64 3
		.amdhsa_dx10_clamp 1
		.amdhsa_ieee_mode 1
		.amdhsa_fp16_overflow 0
		.amdhsa_tg_split 0
		.amdhsa_exception_fp_ieee_invalid_op 0
		.amdhsa_exception_fp_denorm_src 0
		.amdhsa_exception_fp_ieee_div_zero 0
		.amdhsa_exception_fp_ieee_overflow 0
		.amdhsa_exception_fp_ieee_underflow 0
		.amdhsa_exception_fp_ieee_inexact 0
		.amdhsa_exception_int_div_zero 0
	.end_amdhsa_kernel
	.text
.Lfunc_end0:
	.size	_Z6Match1PKfS0_PfPi, .Lfunc_end0-_Z6Match1PKfS0_PfPi
                                        ; -- End function
	.set _Z6Match1PKfS0_PfPi.num_vgpr, 16
	.set _Z6Match1PKfS0_PfPi.num_agpr, 0
	.set _Z6Match1PKfS0_PfPi.numbered_sgpr, 20
	.set _Z6Match1PKfS0_PfPi.num_named_barrier, 0
	.set _Z6Match1PKfS0_PfPi.private_seg_size, 0
	.set _Z6Match1PKfS0_PfPi.uses_vcc, 1
	.set _Z6Match1PKfS0_PfPi.uses_flat_scratch, 0
	.set _Z6Match1PKfS0_PfPi.has_dyn_sized_stack, 0
	.set _Z6Match1PKfS0_PfPi.has_recursion, 0
	.set _Z6Match1PKfS0_PfPi.has_indirect_call, 0
	.section	.AMDGPU.csdata,"",@progbits
; Kernel info:
; codeLenInByte = 244
; TotalNumSgprs: 26
; NumVgprs: 16
; NumAgprs: 0
; TotalNumVgprs: 16
; ScratchSize: 0
; MemoryBound: 0
; FloatMode: 240
; IeeeMode: 1
; LDSByteSize: 0 bytes/workgroup (compile time only)
; SGPRBlocks: 3
; VGPRBlocks: 1
; NumSGPRsForWavesPerEU: 26
; NumVGPRsForWavesPerEU: 16
; AccumOffset: 16
; Occupancy: 8
; WaveLimiterHint : 0
; COMPUTE_PGM_RSRC2:SCRATCH_EN: 0
; COMPUTE_PGM_RSRC2:USER_SGPR: 2
; COMPUTE_PGM_RSRC2:TRAP_HANDLER: 0
; COMPUTE_PGM_RSRC2:TGID_X_EN: 1
; COMPUTE_PGM_RSRC2:TGID_Y_EN: 0
; COMPUTE_PGM_RSRC2:TGID_Z_EN: 0
; COMPUTE_PGM_RSRC2:TIDIG_COMP_CNT: 0
; COMPUTE_PGM_RSRC3_GFX90A:ACCUM_OFFSET: 3
; COMPUTE_PGM_RSRC3_GFX90A:TG_SPLIT: 0
	.text
	.protected	_Z6Match2PKfS0_PfPi     ; -- Begin function _Z6Match2PKfS0_PfPi
	.globl	_Z6Match2PKfS0_PfPi
	.p2align	8
	.type	_Z6Match2PKfS0_PfPi,@function
_Z6Match2PKfS0_PfPi:                    ; @_Z6Match2PKfS0_PfPi
; %bb.0:
	v_and_b32_e32 v6, 0x3ff, v0
	s_movk_i32 s3, 0x80
	v_bfe_u32 v0, v0, 10, 10
	v_cmp_gt_u32_e32 vcc, s3, v6
	s_movk_i32 s3, 0x7f
	v_cmp_lt_u32_e64 s[4:5], 15, v0
	v_cmp_lt_u32_e64 s[6:7], s3, v6
	s_or_b64 s[4:5], s[4:5], s[6:7]
	v_lshlrev_b32_e32 v4, 9, v0
                                        ; implicit-def: $vgpr1
	s_and_saveexec_b64 s[6:7], s[4:5]
	s_xor_b64 s[4:5], exec, s[6:7]
; %bb.1:
	v_lshlrev_b32_e32 v4, 9, v0
	v_lshl_add_u32 v1, v6, 2, v4
; %bb.2:
	s_or_saveexec_b64 s[4:5], s[4:5]
	s_lshl_b32 s14, s2, 4
	s_xor_b64 exec, exec, s[4:5]
	s_cbranch_execz .LBB1_6
; %bb.3:
	s_load_dwordx2 s[6:7], s[0:1], 0x0
	v_or_b32_e32 v1, s14, v0
	v_lshlrev_b32_e32 v2, 7, v1
	v_lshl_add_u32 v1, v6, 2, v4
	s_mov_b64 s[8:9], 0
	s_movk_i32 s10, 0x6f
	v_mov_b32_e32 v3, v1
	v_mov_b32_e32 v5, v6
.LBB1_4:                                ; =>This Inner Loop Header: Depth=1
	v_add_u32_e32 v8, v2, v5
	v_ashrrev_i32_e32 v9, 31, v8
	s_waitcnt lgkmcnt(0)
	v_lshl_add_u64 v[8:9], v[8:9], 2, s[6:7]
	global_load_dword v7, v[8:9], off
	v_add_u32_e32 v8, 16, v5
	v_cmp_lt_u32_e64 s[2:3], s10, v5
	s_or_b64 s[8:9], s[2:3], s[8:9]
	v_mov_b32_e32 v5, v8
	s_waitcnt vmcnt(0)
	ds_write_b32 v3, v7
	v_add_u32_e32 v3, 64, v3
	s_andn2_b64 exec, exec, s[8:9]
	s_cbranch_execnz .LBB1_4
; %bb.5:
	s_or_b64 exec, exec, s[8:9]
.LBB1_6:
	s_or_b64 exec, exec, s[4:5]
	s_load_dwordx4 s[4:7], s[0:1], 0x8
	s_load_dwordx2 s[8:9], s[0:1], 0x18
	v_mov_b32_e32 v2, 0x4000
	v_lshlrev_b32_e32 v5, 6, v0
	v_cmp_eq_u32_e64 s[0:1], 0, v0
	v_lshlrev_b32_e32 v0, 7, v0
	v_lshl_or_b32 v8, v6, 2, v2
	v_add_lshl_u32 v2, v6, v0, 2
	v_mov_b32_e32 v3, 0
	v_lshlrev_b32_e32 v7, 9, v6
	s_mov_b32 s15, 0
	v_add_u32_e32 v9, -16, v6
	v_add_u32_e32 v10, 0x2000, v1
	s_waitcnt lgkmcnt(0)
	v_lshl_add_u64 v[0:1], s[4:5], 0, v[2:3]
	v_add_u32_e32 v2, 0x2000, v4
	v_mov_b32_e32 v12, -1
	s_movk_i32 s16, 0x6f
	v_add_u32_e32 v11, v8, v5
	s_mov_b64 s[4:5], 0x2000
	s_barrier
	s_and_saveexec_b64 s[10:11], vcc
	s_cbranch_execz .LBB1_9
.LBB1_7:
	s_mov_b64 s[12:13], 0
	v_mov_b64_e32 v[4:5], v[0:1]
	v_mov_b32_e32 v13, v10
	v_mov_b32_e32 v14, v9
.LBB1_8:                                ; =>This Inner Loop Header: Depth=1
	global_load_dword v15, v[4:5], off
	v_add_u32_e32 v14, 16, v14
	v_cmp_lt_u32_e64 s[2:3], s16, v14
	v_lshl_add_u64 v[4:5], v[4:5], 0, 64
	s_or_b64 s[12:13], s[2:3], s[12:13]
	s_waitcnt vmcnt(0)
	ds_write_b32 v13, v15
	v_add_u32_e32 v13, 64, v13
	s_andn2_b64 exec, exec, s[12:13]
	s_cbranch_execnz .LBB1_8
.LBB1_9:                                ; =>This Loop Header: Depth=1
                                        ;     Child Loop BB1_10 Depth 2
	s_or_b64 exec, exec, s[10:11]
	v_mov_b32_e32 v4, 0
	s_mov_b32 s2, 0
	s_waitcnt lgkmcnt(0)
	s_barrier
.LBB1_10:                               ;   Parent Loop BB1_9 Depth=1
                                        ; =>  This Inner Loop Header: Depth=2
	v_add_u32_e32 v5, s2, v7
	v_add_u32_e32 v13, s2, v2
	ds_read_b128 v[14:17], v5
	ds_read_b128 v[18:21], v5 offset:16
	ds_read_b128 v[22:25], v5 offset:32
	;; [unrolled: 1-line block ×3, first 2 shown]
	ds_read_b128 v[30:33], v13
	ds_read_b128 v[34:37], v13 offset:16
	ds_read_b128 v[38:41], v13 offset:32
	;; [unrolled: 1-line block ×3, first 2 shown]
	s_add_i32 s2, s2, 64
	s_waitcnt lgkmcnt(3)
	v_fmac_f32_e32 v4, v14, v30
	v_fmac_f32_e32 v4, v15, v31
	v_fmac_f32_e32 v4, v16, v32
	v_fmac_f32_e32 v4, v17, v33
	s_waitcnt lgkmcnt(2)
	v_fmac_f32_e32 v4, v18, v34
	v_fmac_f32_e32 v4, v19, v35
	v_fmac_f32_e32 v4, v20, v36
	v_fmac_f32_e32 v4, v21, v37
	;; [unrolled: 5-line block ×3, first 2 shown]
	s_waitcnt lgkmcnt(0)
	v_fmac_f32_e32 v4, v26, v42
	v_fmac_f32_e32 v4, v27, v43
	;; [unrolled: 1-line block ×3, first 2 shown]
	s_cmpk_eq_i32 s2, 0x200
	v_fmac_f32_e32 v4, v29, v45
	s_cbranch_scc0 .LBB1_10
; %bb.11:                               ;   in Loop: Header=BB1_9 Depth=1
	ds_write_b32 v11, v4
	s_waitcnt lgkmcnt(0)
	s_barrier
	s_and_saveexec_b64 s[10:11], s[0:1]
	s_cbranch_execz .LBB1_13
; %bb.12:                               ;   in Loop: Header=BB1_9 Depth=1
	ds_read2_b32 v[4:5], v8 offset1:16
	ds_read2_b32 v[14:15], v8 offset0:32 offset1:48
	v_mov_b32_e32 v13, s15
	s_or_b32 s12, s15, 1
	s_waitcnt lgkmcnt(1)
	v_cmp_gt_f32_e64 s[2:3], v4, v3
	s_nop 1
	v_cndmask_b32_e64 v3, v3, v4, s[2:3]
	v_cndmask_b32_e64 v4, v12, v13, s[2:3]
	v_cmp_gt_f32_e64 s[2:3], v5, v3
	s_nop 1
	v_cndmask_b32_e64 v3, v3, v5, s[2:3]
	v_mov_b32_e32 v5, s12
	s_or_b32 s12, s15, 2
	v_cndmask_b32_e64 v4, v4, v5, s[2:3]
	s_waitcnt lgkmcnt(0)
	v_cmp_gt_f32_e64 s[2:3], v14, v3
	v_mov_b32_e32 v5, s12
	s_or_b32 s12, s15, 3
	v_cndmask_b32_e64 v12, v4, v5, s[2:3]
	ds_read2_b32 v[4:5], v8 offset0:64 offset1:80
	v_cndmask_b32_e64 v3, v3, v14, s[2:3]
	v_cmp_gt_f32_e64 s[2:3], v15, v3
	v_mov_b32_e32 v13, s12
	s_or_b32 s12, s15, 4
	v_cndmask_b32_e64 v3, v3, v15, s[2:3]
	v_cndmask_b32_e64 v12, v12, v13, s[2:3]
	s_waitcnt lgkmcnt(0)
	v_cmp_gt_f32_e64 s[2:3], v4, v3
	s_nop 1
	v_cndmask_b32_e64 v3, v3, v4, s[2:3]
	v_mov_b32_e32 v4, s12
	v_cndmask_b32_e64 v4, v12, v4, s[2:3]
	ds_read2_b32 v[12:13], v8 offset0:96 offset1:112
	s_or_b32 s12, s15, 5
	v_cmp_gt_f32_e64 s[2:3], v5, v3
	s_nop 1
	v_cndmask_b32_e64 v3, v3, v5, s[2:3]
	v_mov_b32_e32 v5, s12
	s_or_b32 s12, s15, 6
	v_cndmask_b32_e64 v4, v4, v5, s[2:3]
	s_waitcnt lgkmcnt(0)
	v_cmp_gt_f32_e64 s[2:3], v12, v3
	v_mov_b32_e32 v5, s12
	s_or_b32 s12, s15, 7
	v_cndmask_b32_e64 v3, v3, v12, s[2:3]
	v_cndmask_b32_e64 v12, v4, v5, s[2:3]
	ds_read2_b32 v[4:5], v8 offset0:128 offset1:144
	v_cmp_gt_f32_e64 s[2:3], v13, v3
	s_nop 1
	v_cndmask_b32_e64 v3, v3, v13, s[2:3]
	v_mov_b32_e32 v13, s12
	v_cndmask_b32_e64 v12, v12, v13, s[2:3]
	s_or_b32 s12, s15, 8
	s_waitcnt lgkmcnt(0)
	v_cmp_gt_f32_e64 s[2:3], v4, v3
	s_nop 1
	v_cndmask_b32_e64 v3, v3, v4, s[2:3]
	v_mov_b32_e32 v4, s12
	v_cndmask_b32_e64 v4, v12, v4, s[2:3]
	ds_read2_b32 v[12:13], v8 offset0:160 offset1:176
	s_or_b32 s12, s15, 9
	v_cmp_gt_f32_e64 s[2:3], v5, v3
	s_nop 1
	v_cndmask_b32_e64 v3, v3, v5, s[2:3]
	v_mov_b32_e32 v5, s12
	s_or_b32 s12, s15, 10
	v_cndmask_b32_e64 v4, v4, v5, s[2:3]
	s_waitcnt lgkmcnt(0)
	v_cmp_gt_f32_e64 s[2:3], v12, v3
	v_mov_b32_e32 v5, s12
	s_or_b32 s12, s15, 11
	v_cndmask_b32_e64 v3, v3, v12, s[2:3]
	v_cndmask_b32_e64 v12, v4, v5, s[2:3]
	ds_read2_b32 v[4:5], v8 offset0:192 offset1:208
	v_cmp_gt_f32_e64 s[2:3], v13, v3
	s_nop 1
	v_cndmask_b32_e64 v3, v3, v13, s[2:3]
	v_mov_b32_e32 v13, s12
	v_cndmask_b32_e64 v12, v12, v13, s[2:3]
	s_or_b32 s12, s15, 12
	s_waitcnt lgkmcnt(0)
	v_cmp_gt_f32_e64 s[2:3], v4, v3
	s_nop 1
	v_cndmask_b32_e64 v3, v3, v4, s[2:3]
	v_mov_b32_e32 v4, s12
	v_cndmask_b32_e64 v4, v12, v4, s[2:3]
	ds_read2_b32 v[12:13], v8 offset0:224 offset1:240
	s_or_b32 s12, s15, 13
	v_cmp_gt_f32_e64 s[2:3], v5, v3
	s_nop 1
	v_cndmask_b32_e64 v3, v3, v5, s[2:3]
	v_mov_b32_e32 v5, s12
	v_cndmask_b32_e64 v4, v4, v5, s[2:3]
	s_or_b32 s12, s15, 14
	s_waitcnt lgkmcnt(0)
	v_cmp_gt_f32_e64 s[2:3], v12, v3
	v_mov_b32_e32 v5, s12
	s_or_b32 s12, s15, 15
	v_cndmask_b32_e64 v3, v3, v12, s[2:3]
	v_cndmask_b32_e64 v4, v4, v5, s[2:3]
	v_cmp_gt_f32_e64 s[2:3], v13, v3
	v_mov_b32_e32 v5, s12
	s_nop 0
	v_cndmask_b32_e64 v3, v3, v13, s[2:3]
	v_cndmask_b32_e64 v12, v4, v5, s[2:3]
.LBB1_13:                               ;   in Loop: Header=BB1_9 Depth=1
	s_or_b64 exec, exec, s[10:11]
	s_add_i32 s2, s15, 16
	s_cmpk_gt_u32 s15, 0x3fef
	v_lshl_add_u64 v[0:1], v[0:1], 0, s[4:5]
	s_barrier
	s_cbranch_scc1 .LBB1_15
; %bb.14:                               ;   in Loop: Header=BB1_9 Depth=1
	s_mov_b32 s15, s2
	s_and_saveexec_b64 s[10:11], vcc
	s_cbranch_execnz .LBB1_7
	s_branch .LBB1_9
.LBB1_15:
	s_and_saveexec_b64 s[2:3], s[0:1]
	s_cbranch_execz .LBB1_17
; %bb.16:
	v_add_u32_e32 v0, s14, v6
	v_ashrrev_i32_e32 v1, 31, v0
	v_lshlrev_b64 v[0:1], 2, v[0:1]
	v_lshl_add_u64 v[4:5], s[8:9], 0, v[0:1]
	v_lshl_add_u64 v[0:1], s[6:7], 0, v[0:1]
	global_store_dword v[0:1], v3, off
	global_store_dword v[4:5], v12, off
.LBB1_17:
	s_endpgm
	.section	.rodata,"a",@progbits
	.p2align	6, 0x0
	.amdhsa_kernel _Z6Match2PKfS0_PfPi
		.amdhsa_group_segment_fixed_size 17408
		.amdhsa_private_segment_fixed_size 0
		.amdhsa_kernarg_size 32
		.amdhsa_user_sgpr_count 2
		.amdhsa_user_sgpr_dispatch_ptr 0
		.amdhsa_user_sgpr_queue_ptr 0
		.amdhsa_user_sgpr_kernarg_segment_ptr 1
		.amdhsa_user_sgpr_dispatch_id 0
		.amdhsa_user_sgpr_kernarg_preload_length 0
		.amdhsa_user_sgpr_kernarg_preload_offset 0
		.amdhsa_user_sgpr_private_segment_size 0
		.amdhsa_uses_dynamic_stack 0
		.amdhsa_enable_private_segment 0
		.amdhsa_system_sgpr_workgroup_id_x 1
		.amdhsa_system_sgpr_workgroup_id_y 0
		.amdhsa_system_sgpr_workgroup_id_z 0
		.amdhsa_system_sgpr_workgroup_info 0
		.amdhsa_system_vgpr_workitem_id 1
		.amdhsa_next_free_vgpr 46
		.amdhsa_next_free_sgpr 17
		.amdhsa_accum_offset 48
		.amdhsa_reserve_vcc 1
		.amdhsa_float_round_mode_32 0
		.amdhsa_float_round_mode_16_64 0
		.amdhsa_float_denorm_mode_32 3
		.amdhsa_float_denorm_mode_16_64 3
		.amdhsa_dx10_clamp 1
		.amdhsa_ieee_mode 1
		.amdhsa_fp16_overflow 0
		.amdhsa_tg_split 0
		.amdhsa_exception_fp_ieee_invalid_op 0
		.amdhsa_exception_fp_denorm_src 0
		.amdhsa_exception_fp_ieee_div_zero 0
		.amdhsa_exception_fp_ieee_overflow 0
		.amdhsa_exception_fp_ieee_underflow 0
		.amdhsa_exception_fp_ieee_inexact 0
		.amdhsa_exception_int_div_zero 0
	.end_amdhsa_kernel
	.text
.Lfunc_end1:
	.size	_Z6Match2PKfS0_PfPi, .Lfunc_end1-_Z6Match2PKfS0_PfPi
                                        ; -- End function
	.set _Z6Match2PKfS0_PfPi.num_vgpr, 46
	.set _Z6Match2PKfS0_PfPi.num_agpr, 0
	.set _Z6Match2PKfS0_PfPi.numbered_sgpr, 17
	.set _Z6Match2PKfS0_PfPi.num_named_barrier, 0
	.set _Z6Match2PKfS0_PfPi.private_seg_size, 0
	.set _Z6Match2PKfS0_PfPi.uses_vcc, 1
	.set _Z6Match2PKfS0_PfPi.uses_flat_scratch, 0
	.set _Z6Match2PKfS0_PfPi.has_dyn_sized_stack, 0
	.set _Z6Match2PKfS0_PfPi.has_recursion, 0
	.set _Z6Match2PKfS0_PfPi.has_indirect_call, 0
	.section	.AMDGPU.csdata,"",@progbits
; Kernel info:
; codeLenInByte = 1372
; TotalNumSgprs: 23
; NumVgprs: 46
; NumAgprs: 0
; TotalNumVgprs: 46
; ScratchSize: 0
; MemoryBound: 0
; FloatMode: 240
; IeeeMode: 1
; LDSByteSize: 17408 bytes/workgroup (compile time only)
; SGPRBlocks: 2
; VGPRBlocks: 5
; NumSGPRsForWavesPerEU: 23
; NumVGPRsForWavesPerEU: 46
; AccumOffset: 48
; Occupancy: 8
; WaveLimiterHint : 0
; COMPUTE_PGM_RSRC2:SCRATCH_EN: 0
; COMPUTE_PGM_RSRC2:USER_SGPR: 2
; COMPUTE_PGM_RSRC2:TRAP_HANDLER: 0
; COMPUTE_PGM_RSRC2:TGID_X_EN: 1
; COMPUTE_PGM_RSRC2:TGID_Y_EN: 0
; COMPUTE_PGM_RSRC2:TGID_Z_EN: 0
; COMPUTE_PGM_RSRC2:TIDIG_COMP_CNT: 1
; COMPUTE_PGM_RSRC3_GFX90A:ACCUM_OFFSET: 11
; COMPUTE_PGM_RSRC3_GFX90A:TG_SPLIT: 0
	.text
	.protected	_Z6Match3PKfS0_PfPi     ; -- Begin function _Z6Match3PKfS0_PfPi
	.globl	_Z6Match3PKfS0_PfPi
	.p2align	8
	.type	_Z6Match3PKfS0_PfPi,@function
_Z6Match3PKfS0_PfPi:                    ; @_Z6Match3PKfS0_PfPi
; %bb.0:
	v_and_b32_e32 v6, 0x3ff, v0
	s_movk_i32 s3, 0x80
	v_bfe_u32 v0, v0, 10, 10
	v_cmp_gt_u32_e32 vcc, s3, v6
	s_movk_i32 s3, 0x7f
	v_cmp_lt_u32_e64 s[4:5], 15, v0
	v_cmp_lt_u32_e64 s[6:7], s3, v6
	s_or_b64 s[4:5], s[4:5], s[6:7]
	v_lshlrev_b32_e32 v1, 2, v6
	s_and_saveexec_b64 s[6:7], s[4:5]
	s_xor_b64 s[4:5], exec, s[6:7]
; %bb.1:
	v_lshlrev_b32_e32 v1, 2, v6
; %bb.2:
	s_or_saveexec_b64 s[4:5], s[4:5]
	s_lshl_b32 s14, s2, 4
	s_xor_b64 exec, exec, s[4:5]
	s_cbranch_execz .LBB2_6
; %bb.3:
	s_load_dwordx2 s[6:7], s[0:1], 0x0
	v_or_b32_e32 v2, s14, v0
	s_movk_i32 s2, 0x204
	v_lshlrev_b32_e32 v2, 7, v2
	v_mad_u32_u24 v3, v0, s2, v1
	s_mov_b64 s[8:9], 0
	s_movk_i32 s10, 0x6f
	v_mov_b32_e32 v4, v6
.LBB2_4:                                ; =>This Inner Loop Header: Depth=1
	v_add_u32_e32 v8, v2, v4
	v_ashrrev_i32_e32 v9, 31, v8
	s_waitcnt lgkmcnt(0)
	v_lshl_add_u64 v[8:9], v[8:9], 2, s[6:7]
	global_load_dword v5, v[8:9], off
	v_add_u32_e32 v7, 16, v4
	v_cmp_lt_u32_e64 s[2:3], s10, v4
	s_or_b64 s[8:9], s[2:3], s[8:9]
	v_mov_b32_e32 v4, v7
	s_waitcnt vmcnt(0)
	ds_write_b32 v3, v5
	v_add_u32_e32 v3, 64, v3
	s_andn2_b64 exec, exec, s[8:9]
	s_cbranch_execnz .LBB2_4
; %bb.5:
	s_or_b64 exec, exec, s[8:9]
.LBB2_6:
	s_or_b64 exec, exec, s[4:5]
	s_load_dwordx4 s[4:7], s[0:1], 0x8
	s_load_dwordx2 s[8:9], s[0:1], 0x18
	v_mov_b32_e32 v2, 0x4040
	v_lshl_add_u32 v8, v6, 2, v2
	v_mov_b32_e32 v2, 0x2040
	v_lshlrev_b32_e32 v4, 6, v0
	v_cmp_eq_u32_e64 s[0:1], 0, v0
	v_lshl_add_u32 v10, v0, 9, v2
	v_lshlrev_b32_e32 v0, 7, v0
	v_add_lshl_u32 v2, v6, v0, 2
	v_mov_b32_e32 v3, 0
	v_mul_u32_u24_e32 v7, 0x204, v6
	s_mov_b32 s15, 0
	v_add_u32_e32 v9, -16, v6
	v_add_u32_e32 v11, v10, v1
	s_waitcnt lgkmcnt(0)
	v_lshl_add_u64 v[0:1], s[4:5], 0, v[2:3]
	v_mov_b32_e32 v12, -1
	s_movk_i32 s16, 0x6f
	v_add_u32_e32 v2, v8, v4
	s_mov_b64 s[4:5], 0x2000
	s_barrier
	s_and_saveexec_b64 s[10:11], vcc
	s_cbranch_execz .LBB2_9
.LBB2_7:
	s_mov_b64 s[12:13], 0
	v_mov_b64_e32 v[4:5], v[0:1]
	v_mov_b32_e32 v13, v11
	v_mov_b32_e32 v14, v9
.LBB2_8:                                ; =>This Inner Loop Header: Depth=1
	global_load_dword v15, v[4:5], off
	v_add_u32_e32 v14, 16, v14
	v_cmp_lt_u32_e64 s[2:3], s16, v14
	v_lshl_add_u64 v[4:5], v[4:5], 0, 64
	s_or_b64 s[12:13], s[2:3], s[12:13]
	s_waitcnt vmcnt(0)
	ds_write_b32 v13, v15
	v_add_u32_e32 v13, 64, v13
	s_andn2_b64 exec, exec, s[12:13]
	s_cbranch_execnz .LBB2_8
.LBB2_9:                                ; =>This Loop Header: Depth=1
                                        ;     Child Loop BB2_10 Depth 2
	s_or_b64 exec, exec, s[10:11]
	v_mov_b32_e32 v4, 0
	s_mov_b32 s2, 0
	s_waitcnt lgkmcnt(0)
	s_barrier
.LBB2_10:                               ;   Parent Loop BB2_9 Depth=1
                                        ; =>  This Inner Loop Header: Depth=2
	v_add_u32_e32 v13, s2, v10
	v_add_u32_e32 v5, s2, v7
	ds_read_b128 v[14:17], v13
	ds_read_b128 v[18:21], v13 offset:16
	ds_read_b128 v[22:25], v13 offset:32
	;; [unrolled: 1-line block ×3, first 2 shown]
	ds_read2_b32 v[30:31], v5 offset1:1
	ds_read2_b32 v[32:33], v5 offset0:2 offset1:3
	ds_read2_b32 v[34:35], v5 offset0:4 offset1:5
	;; [unrolled: 1-line block ×7, first 2 shown]
	s_waitcnt lgkmcnt(7)
	v_fmac_f32_e32 v4, v30, v14
	v_fmac_f32_e32 v4, v31, v15
	s_waitcnt lgkmcnt(6)
	v_fmac_f32_e32 v4, v32, v16
	v_fmac_f32_e32 v4, v33, v17
	;; [unrolled: 3-line block ×7, first 2 shown]
	s_add_i32 s2, s2, 64
	s_waitcnt lgkmcnt(0)
	v_fmac_f32_e32 v4, v44, v28
	s_cmpk_eq_i32 s2, 0x200
	v_fmac_f32_e32 v4, v45, v29
	s_cbranch_scc0 .LBB2_10
; %bb.11:                               ;   in Loop: Header=BB2_9 Depth=1
	ds_write_b32 v2, v4
	s_waitcnt lgkmcnt(0)
	s_barrier
	s_and_saveexec_b64 s[10:11], s[0:1]
	s_cbranch_execz .LBB2_13
; %bb.12:                               ;   in Loop: Header=BB2_9 Depth=1
	ds_read2_b32 v[4:5], v8 offset1:16
	ds_read2_b32 v[14:15], v8 offset0:32 offset1:48
	v_mov_b32_e32 v13, s15
	s_or_b32 s12, s15, 1
	s_waitcnt lgkmcnt(1)
	v_cmp_gt_f32_e64 s[2:3], v4, v3
	s_nop 1
	v_cndmask_b32_e64 v3, v3, v4, s[2:3]
	v_cndmask_b32_e64 v4, v12, v13, s[2:3]
	v_cmp_gt_f32_e64 s[2:3], v5, v3
	s_nop 1
	v_cndmask_b32_e64 v3, v3, v5, s[2:3]
	v_mov_b32_e32 v5, s12
	s_or_b32 s12, s15, 2
	v_cndmask_b32_e64 v4, v4, v5, s[2:3]
	s_waitcnt lgkmcnt(0)
	v_cmp_gt_f32_e64 s[2:3], v14, v3
	v_mov_b32_e32 v5, s12
	s_or_b32 s12, s15, 3
	v_cndmask_b32_e64 v12, v4, v5, s[2:3]
	ds_read2_b32 v[4:5], v8 offset0:64 offset1:80
	v_cndmask_b32_e64 v3, v3, v14, s[2:3]
	v_cmp_gt_f32_e64 s[2:3], v15, v3
	v_mov_b32_e32 v13, s12
	s_or_b32 s12, s15, 4
	v_cndmask_b32_e64 v3, v3, v15, s[2:3]
	v_cndmask_b32_e64 v12, v12, v13, s[2:3]
	s_waitcnt lgkmcnt(0)
	v_cmp_gt_f32_e64 s[2:3], v4, v3
	s_nop 1
	v_cndmask_b32_e64 v3, v3, v4, s[2:3]
	v_mov_b32_e32 v4, s12
	v_cndmask_b32_e64 v4, v12, v4, s[2:3]
	ds_read2_b32 v[12:13], v8 offset0:96 offset1:112
	s_or_b32 s12, s15, 5
	v_cmp_gt_f32_e64 s[2:3], v5, v3
	s_nop 1
	v_cndmask_b32_e64 v3, v3, v5, s[2:3]
	v_mov_b32_e32 v5, s12
	s_or_b32 s12, s15, 6
	v_cndmask_b32_e64 v4, v4, v5, s[2:3]
	s_waitcnt lgkmcnt(0)
	v_cmp_gt_f32_e64 s[2:3], v12, v3
	v_mov_b32_e32 v5, s12
	s_or_b32 s12, s15, 7
	v_cndmask_b32_e64 v3, v3, v12, s[2:3]
	v_cndmask_b32_e64 v12, v4, v5, s[2:3]
	ds_read2_b32 v[4:5], v8 offset0:128 offset1:144
	v_cmp_gt_f32_e64 s[2:3], v13, v3
	s_nop 1
	v_cndmask_b32_e64 v3, v3, v13, s[2:3]
	v_mov_b32_e32 v13, s12
	v_cndmask_b32_e64 v12, v12, v13, s[2:3]
	s_or_b32 s12, s15, 8
	s_waitcnt lgkmcnt(0)
	v_cmp_gt_f32_e64 s[2:3], v4, v3
	s_nop 1
	v_cndmask_b32_e64 v3, v3, v4, s[2:3]
	v_mov_b32_e32 v4, s12
	v_cndmask_b32_e64 v4, v12, v4, s[2:3]
	ds_read2_b32 v[12:13], v8 offset0:160 offset1:176
	s_or_b32 s12, s15, 9
	v_cmp_gt_f32_e64 s[2:3], v5, v3
	s_nop 1
	v_cndmask_b32_e64 v3, v3, v5, s[2:3]
	v_mov_b32_e32 v5, s12
	s_or_b32 s12, s15, 10
	v_cndmask_b32_e64 v4, v4, v5, s[2:3]
	s_waitcnt lgkmcnt(0)
	v_cmp_gt_f32_e64 s[2:3], v12, v3
	v_mov_b32_e32 v5, s12
	s_or_b32 s12, s15, 11
	v_cndmask_b32_e64 v3, v3, v12, s[2:3]
	v_cndmask_b32_e64 v12, v4, v5, s[2:3]
	ds_read2_b32 v[4:5], v8 offset0:192 offset1:208
	v_cmp_gt_f32_e64 s[2:3], v13, v3
	s_nop 1
	v_cndmask_b32_e64 v3, v3, v13, s[2:3]
	v_mov_b32_e32 v13, s12
	v_cndmask_b32_e64 v12, v12, v13, s[2:3]
	s_or_b32 s12, s15, 12
	s_waitcnt lgkmcnt(0)
	v_cmp_gt_f32_e64 s[2:3], v4, v3
	s_nop 1
	v_cndmask_b32_e64 v3, v3, v4, s[2:3]
	v_mov_b32_e32 v4, s12
	v_cndmask_b32_e64 v4, v12, v4, s[2:3]
	ds_read2_b32 v[12:13], v8 offset0:224 offset1:240
	s_or_b32 s12, s15, 13
	v_cmp_gt_f32_e64 s[2:3], v5, v3
	s_nop 1
	v_cndmask_b32_e64 v3, v3, v5, s[2:3]
	v_mov_b32_e32 v5, s12
	v_cndmask_b32_e64 v4, v4, v5, s[2:3]
	s_or_b32 s12, s15, 14
	s_waitcnt lgkmcnt(0)
	v_cmp_gt_f32_e64 s[2:3], v12, v3
	v_mov_b32_e32 v5, s12
	s_or_b32 s12, s15, 15
	v_cndmask_b32_e64 v3, v3, v12, s[2:3]
	v_cndmask_b32_e64 v4, v4, v5, s[2:3]
	v_cmp_gt_f32_e64 s[2:3], v13, v3
	v_mov_b32_e32 v5, s12
	s_nop 0
	v_cndmask_b32_e64 v3, v3, v13, s[2:3]
	v_cndmask_b32_e64 v12, v4, v5, s[2:3]
.LBB2_13:                               ;   in Loop: Header=BB2_9 Depth=1
	s_or_b64 exec, exec, s[10:11]
	s_add_i32 s2, s15, 16
	s_cmpk_gt_u32 s15, 0x3fef
	v_lshl_add_u64 v[0:1], v[0:1], 0, s[4:5]
	s_barrier
	s_cbranch_scc1 .LBB2_15
; %bb.14:                               ;   in Loop: Header=BB2_9 Depth=1
	s_mov_b32 s15, s2
	s_and_saveexec_b64 s[10:11], vcc
	s_cbranch_execnz .LBB2_7
	s_branch .LBB2_9
.LBB2_15:
	s_and_saveexec_b64 s[2:3], s[0:1]
	s_cbranch_execz .LBB2_17
; %bb.16:
	v_add_u32_e32 v0, s14, v6
	v_ashrrev_i32_e32 v1, 31, v0
	v_lshlrev_b64 v[0:1], 2, v[0:1]
	v_lshl_add_u64 v[4:5], s[8:9], 0, v[0:1]
	v_lshl_add_u64 v[0:1], s[6:7], 0, v[0:1]
	global_store_dword v[0:1], v3, off
	global_store_dword v[4:5], v12, off
.LBB2_17:
	s_endpgm
	.section	.rodata,"a",@progbits
	.p2align	6, 0x0
	.amdhsa_kernel _Z6Match3PKfS0_PfPi
		.amdhsa_group_segment_fixed_size 17472
		.amdhsa_private_segment_fixed_size 0
		.amdhsa_kernarg_size 32
		.amdhsa_user_sgpr_count 2
		.amdhsa_user_sgpr_dispatch_ptr 0
		.amdhsa_user_sgpr_queue_ptr 0
		.amdhsa_user_sgpr_kernarg_segment_ptr 1
		.amdhsa_user_sgpr_dispatch_id 0
		.amdhsa_user_sgpr_kernarg_preload_length 0
		.amdhsa_user_sgpr_kernarg_preload_offset 0
		.amdhsa_user_sgpr_private_segment_size 0
		.amdhsa_uses_dynamic_stack 0
		.amdhsa_enable_private_segment 0
		.amdhsa_system_sgpr_workgroup_id_x 1
		.amdhsa_system_sgpr_workgroup_id_y 0
		.amdhsa_system_sgpr_workgroup_id_z 0
		.amdhsa_system_sgpr_workgroup_info 0
		.amdhsa_system_vgpr_workitem_id 1
		.amdhsa_next_free_vgpr 46
		.amdhsa_next_free_sgpr 17
		.amdhsa_accum_offset 48
		.amdhsa_reserve_vcc 1
		.amdhsa_float_round_mode_32 0
		.amdhsa_float_round_mode_16_64 0
		.amdhsa_float_denorm_mode_32 3
		.amdhsa_float_denorm_mode_16_64 3
		.amdhsa_dx10_clamp 1
		.amdhsa_ieee_mode 1
		.amdhsa_fp16_overflow 0
		.amdhsa_tg_split 0
		.amdhsa_exception_fp_ieee_invalid_op 0
		.amdhsa_exception_fp_denorm_src 0
		.amdhsa_exception_fp_ieee_div_zero 0
		.amdhsa_exception_fp_ieee_overflow 0
		.amdhsa_exception_fp_ieee_underflow 0
		.amdhsa_exception_fp_ieee_inexact 0
		.amdhsa_exception_int_div_zero 0
	.end_amdhsa_kernel
	.text
.Lfunc_end2:
	.size	_Z6Match3PKfS0_PfPi, .Lfunc_end2-_Z6Match3PKfS0_PfPi
                                        ; -- End function
	.set _Z6Match3PKfS0_PfPi.num_vgpr, 46
	.set _Z6Match3PKfS0_PfPi.num_agpr, 0
	.set _Z6Match3PKfS0_PfPi.numbered_sgpr, 17
	.set _Z6Match3PKfS0_PfPi.num_named_barrier, 0
	.set _Z6Match3PKfS0_PfPi.private_seg_size, 0
	.set _Z6Match3PKfS0_PfPi.uses_vcc, 1
	.set _Z6Match3PKfS0_PfPi.uses_flat_scratch, 0
	.set _Z6Match3PKfS0_PfPi.has_dyn_sized_stack, 0
	.set _Z6Match3PKfS0_PfPi.has_recursion, 0
	.set _Z6Match3PKfS0_PfPi.has_indirect_call, 0
	.section	.AMDGPU.csdata,"",@progbits
; Kernel info:
; codeLenInByte = 1420
; TotalNumSgprs: 23
; NumVgprs: 46
; NumAgprs: 0
; TotalNumVgprs: 46
; ScratchSize: 0
; MemoryBound: 0
; FloatMode: 240
; IeeeMode: 1
; LDSByteSize: 17472 bytes/workgroup (compile time only)
; SGPRBlocks: 2
; VGPRBlocks: 5
; NumSGPRsForWavesPerEU: 23
; NumVGPRsForWavesPerEU: 46
; AccumOffset: 48
; Occupancy: 8
; WaveLimiterHint : 0
; COMPUTE_PGM_RSRC2:SCRATCH_EN: 0
; COMPUTE_PGM_RSRC2:USER_SGPR: 2
; COMPUTE_PGM_RSRC2:TRAP_HANDLER: 0
; COMPUTE_PGM_RSRC2:TGID_X_EN: 1
; COMPUTE_PGM_RSRC2:TGID_Y_EN: 0
; COMPUTE_PGM_RSRC2:TGID_Z_EN: 0
; COMPUTE_PGM_RSRC2:TIDIG_COMP_CNT: 1
; COMPUTE_PGM_RSRC3_GFX90A:ACCUM_OFFSET: 11
; COMPUTE_PGM_RSRC3_GFX90A:TG_SPLIT: 0
	.text
	.protected	_Z6Match4PKfS0_PfPi     ; -- Begin function _Z6Match4PKfS0_PfPi
	.globl	_Z6Match4PKfS0_PfPi
	.p2align	8
	.type	_Z6Match4PKfS0_PfPi,@function
_Z6Match4PKfS0_PfPi:                    ; @_Z6Match4PKfS0_PfPi
; %bb.0:
	v_and_b32_e32 v6, 0x3ff, v0
	v_bfe_u32 v0, v0, 10, 10
	v_cmp_lt_u32_e64 s[4:5], 15, v0
	v_cmp_lt_u32_e64 s[6:7], 31, v6
	v_cmp_gt_u32_e32 vcc, 32, v6
	s_or_b64 s[4:5], s[4:5], s[6:7]
	v_lshlrev_b32_e32 v1, 4, v6
	s_and_saveexec_b64 s[6:7], s[4:5]
	s_xor_b64 s[4:5], exec, s[6:7]
; %bb.1:
	v_lshlrev_b32_e32 v1, 4, v6
; %bb.2:
	s_or_saveexec_b64 s[4:5], s[4:5]
	s_lshl_b32 s16, s2, 4
	s_xor_b64 exec, exec, s[4:5]
	s_cbranch_execz .LBB3_6
; %bb.3:
	s_load_dwordx2 s[6:7], s[0:1], 0x0
	v_or_b32_e32 v2, s16, v0
	s_movk_i32 s2, 0x210
	v_lshlrev_b32_e32 v2, 5, v2
	v_mad_u32_u24 v3, v0, s2, v1
	s_mov_b64 s[8:9], 0
	v_mov_b32_e32 v4, v6
.LBB3_4:                                ; =>This Inner Loop Header: Depth=1
	v_add_u32_e32 v8, v2, v4
	v_ashrrev_i32_e32 v9, 31, v8
	s_waitcnt lgkmcnt(0)
	v_lshl_add_u64 v[8:9], v[8:9], 4, s[6:7]
	global_load_dwordx4 v[8:11], v[8:9], off
	v_add_u32_e32 v5, 16, v4
	v_cmp_lt_u32_e64 s[2:3], 15, v4
	s_or_b64 s[8:9], s[2:3], s[8:9]
	v_mov_b32_e32 v4, v5
	s_waitcnt vmcnt(0)
	ds_write_b128 v3, v[8:11]
	v_add_u32_e32 v3, 0x100, v3
	s_andn2_b64 exec, exec, s[8:9]
	s_cbranch_execnz .LBB3_4
; %bb.5:
	s_or_b64 exec, exec, s[8:9]
.LBB3_6:
	s_or_b64 exec, exec, s[4:5]
	s_load_dwordx4 s[4:7], s[0:1], 0x8
	s_load_dwordx2 s[8:9], s[0:1], 0x18
	v_lshlrev_b32_e32 v2, 9, v0
	s_movk_i32 s2, 0x2100
	v_mov_b32_e32 v3, 0x4100
	v_lshlrev_b32_e32 v4, 6, v0
	v_cmp_eq_u32_e64 s[0:1], 0, v0
	v_lshlrev_b32_e32 v0, 5, v0
	v_add_u32_e32 v8, 0x2100, v2
	v_lshl_add_u32 v9, v6, 2, v3
	v_add3_u32 v11, v2, v1, s2
	v_add_lshl_u32 v2, v6, v0, 4
	v_mov_b32_e32 v3, 0
	v_mul_u32_u24_e32 v7, 0x210, v6
	s_mov_b32 s17, 0
	v_add_u32_e32 v10, -16, v6
	s_waitcnt lgkmcnt(0)
	v_lshl_add_u64 v[0:1], s[4:5], 0, v[2:3]
	v_mov_b32_e32 v12, -1
	s_mov_b64 s[4:5], 0x100
	v_add_u32_e32 v2, v9, v4
	s_mov_b64 s[10:11], 0x2000
	s_barrier
	s_and_saveexec_b64 s[12:13], vcc
	s_cbranch_execz .LBB3_9
.LBB3_7:
	s_mov_b64 s[14:15], 0
	v_mov_b64_e32 v[4:5], v[0:1]
	v_mov_b32_e32 v13, v11
	v_mov_b32_e32 v14, v10
.LBB3_8:                                ; =>This Inner Loop Header: Depth=1
	global_load_dwordx4 v[16:19], v[4:5], off
	v_add_co_u32_e64 v14, s[2:3], 16, v14
	s_xor_b64 s[2:3], s[2:3], -1
	s_and_b64 s[2:3], exec, s[2:3]
	v_lshl_add_u64 v[4:5], v[4:5], 0, s[4:5]
	s_or_b64 s[14:15], s[2:3], s[14:15]
	s_waitcnt vmcnt(0)
	ds_write_b128 v13, v[16:19]
	v_add_u32_e32 v13, 0x100, v13
	s_andn2_b64 exec, exec, s[14:15]
	s_cbranch_execnz .LBB3_8
.LBB3_9:                                ; =>This Inner Loop Header: Depth=1
	s_or_b64 exec, exec, s[12:13]
	s_waitcnt lgkmcnt(0)
	s_barrier
	ds_read_b128 v[14:17], v7
	ds_read_b128 v[18:21], v7 offset:16
	ds_read_b128 v[22:25], v8
	ds_read_b128 v[26:29], v7 offset:32
	ds_read_b128 v[30:33], v7 offset:48
	;; [unrolled: 1-line block ×5, first 2 shown]
	s_waitcnt lgkmcnt(5)
	v_fma_f32 v4, v14, v22, 0
	v_fmac_f32_e32 v4, v15, v23
	v_fmac_f32_e32 v4, v16, v24
	;; [unrolled: 1-line block ×3, first 2 shown]
	s_waitcnt lgkmcnt(2)
	v_fmac_f32_e32 v4, v18, v34
	v_fmac_f32_e32 v4, v19, v35
	;; [unrolled: 1-line block ×4, first 2 shown]
	s_waitcnt lgkmcnt(1)
	v_fmac_f32_e32 v4, v26, v38
	v_fmac_f32_e32 v4, v27, v39
	v_fmac_f32_e32 v4, v28, v40
	v_fmac_f32_e32 v4, v29, v41
	ds_read_b128 v[14:17], v7 offset:64
	ds_read_b128 v[18:21], v8 offset:64
	s_waitcnt lgkmcnt(2)
	v_fmac_f32_e32 v4, v30, v42
	v_fmac_f32_e32 v4, v31, v43
	v_fmac_f32_e32 v4, v32, v44
	v_fmac_f32_e32 v4, v33, v45
	ds_read_b128 v[22:25], v7 offset:80
	ds_read_b128 v[26:29], v8 offset:80
	;; [unrolled: 7-line block ×24, first 2 shown]
	s_waitcnt lgkmcnt(2)
	v_fmac_f32_e32 v4, v14, v18
	v_fmac_f32_e32 v4, v15, v19
	;; [unrolled: 1-line block ×4, first 2 shown]
	s_waitcnt lgkmcnt(0)
	v_fmac_f32_e32 v4, v22, v26
	ds_read_b128 v[14:17], v7 offset:448
	ds_read_b128 v[18:21], v8 offset:448
	v_fmac_f32_e32 v4, v23, v27
	v_fmac_f32_e32 v4, v24, v28
	;; [unrolled: 1-line block ×3, first 2 shown]
	ds_read_b128 v[22:25], v7 offset:464
	ds_read_b128 v[26:29], v8 offset:464
	s_waitcnt lgkmcnt(2)
	v_fmac_f32_e32 v4, v14, v18
	v_fmac_f32_e32 v4, v15, v19
	;; [unrolled: 1-line block ×4, first 2 shown]
	s_waitcnt lgkmcnt(0)
	v_pk_mul_f32 v[14:15], v[22:23], v[26:27]
	s_nop 0
	v_add_f32_e32 v4, v4, v14
	v_add_f32_e32 v13, v4, v15
	ds_read_b128 v[14:17], v7 offset:480
	ds_read_b128 v[18:21], v8 offset:480
	v_pk_mul_f32 v[4:5], v[24:25], v[28:29]
	ds_read_b128 v[22:25], v7 offset:496
	ds_read_b128 v[26:29], v8 offset:496
	v_add_f32_e32 v4, v13, v4
	v_add_f32_e32 v13, v4, v5
	s_waitcnt lgkmcnt(2)
	v_pk_mul_f32 v[4:5], v[14:15], v[18:19]
	s_nop 0
	v_add_f32_e32 v4, v13, v4
	v_add_f32_e32 v13, v4, v5
	v_pk_mul_f32 v[4:5], v[16:17], v[20:21]
	s_nop 0
	v_add_f32_e32 v4, v13, v4
	v_add_f32_e32 v13, v4, v5
	s_waitcnt lgkmcnt(0)
	v_pk_mul_f32 v[4:5], v[22:23], v[26:27]
	s_nop 0
	v_add_f32_e32 v4, v13, v4
	v_add_f32_e32 v13, v4, v5
	v_pk_mul_f32 v[4:5], v[24:25], v[28:29]
	s_nop 0
	v_add_f32_e32 v4, v13, v4
	v_add_f32_e32 v4, v4, v5
	ds_write_b32 v2, v4
	s_waitcnt lgkmcnt(0)
	s_barrier
	s_and_saveexec_b64 s[12:13], s[0:1]
	s_cbranch_execz .LBB3_11
; %bb.10:                               ;   in Loop: Header=BB3_9 Depth=1
	ds_read2_b32 v[4:5], v9 offset1:16
	s_or_b32 s2, s17, 1
	v_mov_b32_e32 v13, s17
	v_mov_b32_e32 v14, s2
	s_waitcnt lgkmcnt(0)
	v_cmp_gt_f32_e64 s[2:3], v4, v3
	s_nop 1
	v_cndmask_b32_e64 v15, v12, v13, s[2:3]
	ds_read2_b32 v[12:13], v9 offset0:32 offset1:48
	v_cndmask_b32_e64 v3, v3, v4, s[2:3]
	v_cmp_gt_f32_e64 s[2:3], v5, v3
	s_nop 1
	v_cndmask_b32_e64 v4, v15, v14, s[2:3]
	v_cndmask_b32_e64 v3, v3, v5, s[2:3]
	s_or_b32 s2, s17, 2
	v_mov_b32_e32 v5, s2
	s_waitcnt lgkmcnt(0)
	v_cmp_gt_f32_e64 s[2:3], v12, v3
	s_nop 1
	v_cndmask_b32_e64 v14, v4, v5, s[2:3]
	ds_read2_b32 v[4:5], v9 offset0:64 offset1:80
	v_cndmask_b32_e64 v3, v3, v12, s[2:3]
	s_or_b32 s2, s17, 3
	v_mov_b32_e32 v12, s2
	v_cmp_gt_f32_e64 s[2:3], v13, v3
	s_nop 1
	v_cndmask_b32_e64 v12, v14, v12, s[2:3]
	v_cndmask_b32_e64 v3, v3, v13, s[2:3]
	s_or_b32 s2, s17, 4
	v_mov_b32_e32 v13, s2
	s_waitcnt lgkmcnt(0)
	v_cmp_gt_f32_e64 s[2:3], v4, v3
	s_nop 1
	v_cndmask_b32_e64 v14, v12, v13, s[2:3]
	ds_read2_b32 v[12:13], v9 offset0:96 offset1:112
	v_cndmask_b32_e64 v3, v3, v4, s[2:3]
	s_or_b32 s2, s17, 5
	v_mov_b32_e32 v4, s2
	;; [unrolled: 14-line block ×6, first 2 shown]
	v_cmp_gt_f32_e64 s[2:3], v5, v3
	s_nop 1
	v_cndmask_b32_e64 v4, v14, v4, s[2:3]
	v_cndmask_b32_e64 v3, v3, v5, s[2:3]
	s_or_b32 s2, s17, 14
	v_mov_b32_e32 v5, s2
	s_waitcnt lgkmcnt(0)
	v_cmp_gt_f32_e64 s[2:3], v12, v3
	s_nop 1
	v_cndmask_b32_e64 v4, v4, v5, s[2:3]
	v_cndmask_b32_e64 v3, v3, v12, s[2:3]
	s_or_b32 s2, s17, 15
	v_mov_b32_e32 v5, s2
	v_cmp_gt_f32_e64 s[2:3], v13, v3
	s_nop 1
	v_cndmask_b32_e64 v12, v4, v5, s[2:3]
	v_cndmask_b32_e64 v3, v3, v13, s[2:3]
.LBB3_11:                               ;   in Loop: Header=BB3_9 Depth=1
	s_or_b64 exec, exec, s[12:13]
	s_add_i32 s2, s17, 16
	s_cmpk_gt_u32 s17, 0x3fef
	v_lshl_add_u64 v[0:1], v[0:1], 0, s[10:11]
	s_barrier
	s_cbranch_scc1 .LBB3_13
; %bb.12:                               ;   in Loop: Header=BB3_9 Depth=1
	s_mov_b32 s17, s2
	s_and_saveexec_b64 s[12:13], vcc
	s_cbranch_execnz .LBB3_7
	s_branch .LBB3_9
.LBB3_13:
	s_and_saveexec_b64 s[2:3], s[0:1]
	s_cbranch_execz .LBB3_15
; %bb.14:
	v_add_u32_e32 v0, s16, v6
	v_ashrrev_i32_e32 v1, 31, v0
	v_lshlrev_b64 v[0:1], 2, v[0:1]
	v_lshl_add_u64 v[4:5], s[8:9], 0, v[0:1]
	v_lshl_add_u64 v[0:1], s[6:7], 0, v[0:1]
	global_store_dword v[0:1], v3, off
	global_store_dword v[4:5], v12, off
.LBB3_15:
	s_endpgm
	.section	.rodata,"a",@progbits
	.p2align	6, 0x0
	.amdhsa_kernel _Z6Match4PKfS0_PfPi
		.amdhsa_group_segment_fixed_size 17664
		.amdhsa_private_segment_fixed_size 0
		.amdhsa_kernarg_size 32
		.amdhsa_user_sgpr_count 2
		.amdhsa_user_sgpr_dispatch_ptr 0
		.amdhsa_user_sgpr_queue_ptr 0
		.amdhsa_user_sgpr_kernarg_segment_ptr 1
		.amdhsa_user_sgpr_dispatch_id 0
		.amdhsa_user_sgpr_kernarg_preload_length 0
		.amdhsa_user_sgpr_kernarg_preload_offset 0
		.amdhsa_user_sgpr_private_segment_size 0
		.amdhsa_uses_dynamic_stack 0
		.amdhsa_enable_private_segment 0
		.amdhsa_system_sgpr_workgroup_id_x 1
		.amdhsa_system_sgpr_workgroup_id_y 0
		.amdhsa_system_sgpr_workgroup_id_z 0
		.amdhsa_system_sgpr_workgroup_info 0
		.amdhsa_system_vgpr_workitem_id 1
		.amdhsa_next_free_vgpr 46
		.amdhsa_next_free_sgpr 18
		.amdhsa_accum_offset 48
		.amdhsa_reserve_vcc 1
		.amdhsa_float_round_mode_32 0
		.amdhsa_float_round_mode_16_64 0
		.amdhsa_float_denorm_mode_32 3
		.amdhsa_float_denorm_mode_16_64 3
		.amdhsa_dx10_clamp 1
		.amdhsa_ieee_mode 1
		.amdhsa_fp16_overflow 0
		.amdhsa_tg_split 0
		.amdhsa_exception_fp_ieee_invalid_op 0
		.amdhsa_exception_fp_denorm_src 0
		.amdhsa_exception_fp_ieee_div_zero 0
		.amdhsa_exception_fp_ieee_overflow 0
		.amdhsa_exception_fp_ieee_underflow 0
		.amdhsa_exception_fp_ieee_inexact 0
		.amdhsa_exception_int_div_zero 0
	.end_amdhsa_kernel
	.text
.Lfunc_end3:
	.size	_Z6Match4PKfS0_PfPi, .Lfunc_end3-_Z6Match4PKfS0_PfPi
                                        ; -- End function
	.set _Z6Match4PKfS0_PfPi.num_vgpr, 46
	.set _Z6Match4PKfS0_PfPi.num_agpr, 0
	.set _Z6Match4PKfS0_PfPi.numbered_sgpr, 18
	.set _Z6Match4PKfS0_PfPi.num_named_barrier, 0
	.set _Z6Match4PKfS0_PfPi.private_seg_size, 0
	.set _Z6Match4PKfS0_PfPi.uses_vcc, 1
	.set _Z6Match4PKfS0_PfPi.uses_flat_scratch, 0
	.set _Z6Match4PKfS0_PfPi.has_dyn_sized_stack, 0
	.set _Z6Match4PKfS0_PfPi.has_recursion, 0
	.set _Z6Match4PKfS0_PfPi.has_indirect_call, 0
	.section	.AMDGPU.csdata,"",@progbits
; Kernel info:
; codeLenInByte = 2452
; TotalNumSgprs: 24
; NumVgprs: 46
; NumAgprs: 0
; TotalNumVgprs: 46
; ScratchSize: 0
; MemoryBound: 0
; FloatMode: 240
; IeeeMode: 1
; LDSByteSize: 17664 bytes/workgroup (compile time only)
; SGPRBlocks: 2
; VGPRBlocks: 5
; NumSGPRsForWavesPerEU: 24
; NumVGPRsForWavesPerEU: 46
; AccumOffset: 48
; Occupancy: 8
; WaveLimiterHint : 0
; COMPUTE_PGM_RSRC2:SCRATCH_EN: 0
; COMPUTE_PGM_RSRC2:USER_SGPR: 2
; COMPUTE_PGM_RSRC2:TRAP_HANDLER: 0
; COMPUTE_PGM_RSRC2:TGID_X_EN: 1
; COMPUTE_PGM_RSRC2:TGID_Y_EN: 0
; COMPUTE_PGM_RSRC2:TGID_Z_EN: 0
; COMPUTE_PGM_RSRC2:TIDIG_COMP_CNT: 1
; COMPUTE_PGM_RSRC3_GFX90A:ACCUM_OFFSET: 11
; COMPUTE_PGM_RSRC3_GFX90A:TG_SPLIT: 0
	.text
	.protected	_Z6Match5PKfS0_PfPi     ; -- Begin function _Z6Match5PKfS0_PfPi
	.globl	_Z6Match5PKfS0_PfPi
	.p2align	8
	.type	_Z6Match5PKfS0_PfPi,@function
_Z6Match5PKfS0_PfPi:                    ; @_Z6Match5PKfS0_PfPi
; %bb.0:
	v_and_b32_e32 v24, 0x3ff, v0
	v_bfe_u32 v0, v0, 10, 10
	v_cmp_lt_u32_e64 s[4:5], 15, v0
	v_cmp_lt_u32_e64 s[6:7], 31, v24
	v_cmp_gt_u32_e32 vcc, 32, v24
	s_or_b64 s[4:5], s[4:5], s[6:7]
	v_lshlrev_b32_e32 v1, 4, v24
	s_and_saveexec_b64 s[6:7], s[4:5]
	s_xor_b64 s[4:5], exec, s[6:7]
; %bb.1:
	v_lshlrev_b32_e32 v1, 4, v24
; %bb.2:
	s_or_saveexec_b64 s[4:5], s[4:5]
	s_lshl_b32 s18, s2, 4
	s_xor_b64 exec, exec, s[4:5]
	s_cbranch_execz .LBB4_6
; %bb.3:
	s_load_dwordx2 s[6:7], s[0:1], 0x0
	v_or_b32_e32 v2, s18, v0
	s_movk_i32 s2, 0x210
	v_lshlrev_b32_e32 v2, 5, v2
	v_mad_u32_u24 v3, v0, s2, v1
	s_mov_b64 s[8:9], 0
	v_mov_b32_e32 v4, v24
.LBB4_4:                                ; =>This Inner Loop Header: Depth=1
	v_add_u32_e32 v6, v2, v4
	v_ashrrev_i32_e32 v7, 31, v6
	s_waitcnt lgkmcnt(0)
	v_lshl_add_u64 v[6:7], v[6:7], 4, s[6:7]
	global_load_dwordx4 v[6:9], v[6:7], off
	v_add_u32_e32 v5, 16, v4
	v_cmp_lt_u32_e64 s[2:3], 15, v4
	s_or_b64 s[8:9], s[2:3], s[8:9]
	v_mov_b32_e32 v4, v5
	s_waitcnt vmcnt(0)
	ds_write_b128 v3, v[6:9]
	v_add_u32_e32 v3, 0x100, v3
	s_andn2_b64 exec, exec, s[8:9]
	s_cbranch_execnz .LBB4_4
; %bb.5:
	s_or_b64 exec, exec, s[8:9]
.LBB4_6:
	s_or_b64 exec, exec, s[4:5]
	s_load_dwordx4 s[4:7], s[0:1], 0x8
	s_load_dwordx2 s[8:9], s[0:1], 0x18
	v_lshlrev_b32_e32 v2, 9, v0
	s_movk_i32 s10, 0x2100
	v_mov_b32_e32 v3, 0x4100
	v_add3_u32 v28, v2, v1, s10
	v_lshlrev_b32_e32 v1, 5, v0
	v_lshl_add_u32 v26, v24, 2, v3
	v_lshlrev_b32_e32 v3, 8, v0
	v_add_lshl_u32 v18, v24, v1, 4
	v_mov_b32_e32 v19, 0
	v_mov_b32_e32 v1, 0x2100
	v_cmp_gt_u32_e64 s[2:3], 4, v0
	s_mov_b32 s19, 0
	v_cmp_eq_u32_e64 s[0:1], 0, v0
	v_mul_u32_u24_e32 v25, 0x210, v24
	v_add_u32_e32 v27, -16, v24
	s_waitcnt lgkmcnt(0)
	v_lshl_add_u64 v[16:17], s[4:5], 0, v[18:19]
	v_lshl_add_u32 v18, v0, 11, v1
	v_mov_b32_e32 v30, -1
	s_mov_b64 s[10:11], 0x100
	v_add_u32_e32 v29, v26, v3
	s_mov_b64 s[12:13], 0x2000
	s_barrier
	s_and_saveexec_b64 s[14:15], vcc
	s_cbranch_execz .LBB4_9
.LBB4_7:
	s_mov_b64 s[16:17], 0
	v_mov_b64_e32 v[0:1], v[16:17]
	v_mov_b32_e32 v2, v28
	v_mov_b32_e32 v3, v27
.LBB4_8:                                ; =>This Inner Loop Header: Depth=1
	global_load_dwordx4 v[4:7], v[0:1], off
	v_add_co_u32_e64 v3, s[4:5], 16, v3
	s_xor_b64 s[4:5], s[4:5], -1
	s_and_b64 s[4:5], exec, s[4:5]
	v_lshl_add_u64 v[0:1], v[0:1], 0, s[10:11]
	s_or_b64 s[16:17], s[4:5], s[16:17]
	s_waitcnt vmcnt(0)
	ds_write_b128 v2, v[4:7]
	v_add_u32_e32 v2, 0x100, v2
	s_andn2_b64 exec, exec, s[16:17]
	s_cbranch_execnz .LBB4_8
.LBB4_9:                                ; =>This Loop Header: Depth=1
                                        ;     Child Loop BB4_11 Depth 2
	s_or_b64 exec, exec, s[14:15]
	s_waitcnt lgkmcnt(0)
	s_barrier
	s_and_saveexec_b64 s[4:5], s[2:3]
	s_cbranch_execz .LBB4_13
; %bb.10:                               ;   in Loop: Header=BB4_9 Depth=1
	v_mov_b32_e32 v20, 0
	s_mov_b32 s14, 0
	v_mov_b32_e32 v21, v20
	v_mov_b32_e32 v22, v20
	;; [unrolled: 1-line block ×3, first 2 shown]
.LBB4_11:                               ;   Parent Loop BB4_9 Depth=1
                                        ; =>  This Inner Loop Header: Depth=2
	v_add_u32_e32 v0, s14, v25
	v_add_u32_e32 v31, s14, v18
	ds_read_b128 v[32:35], v31 offset:1024
	ds_read_b128 v[36:39], v0
	ds_read_b128 v[40:43], v0 offset:16
	ds_read_b128 v[8:11], v0 offset:32
	;; [unrolled: 1-line block ×4, first 2 shown]
	ds_read_b128 v[48:51], v31
	ds_read_b128 v[52:55], v31 offset:16
	ds_read_b128 v[12:15], v31 offset:32
	;; [unrolled: 1-line block ×4, first 2 shown]
	s_waitcnt lgkmcnt(4)
	v_mov_b32_e32 v62, v48
	v_mul_f32_e32 v32, v36, v32
	v_mul_f32_e32 v60, v37, v33
	v_pk_mul_f32 v[44:45], v[36:37], v[44:45]
	s_waitcnt lgkmcnt(0)
	v_mov_b32_e32 v63, v56
	v_pk_fma_f32 v[20:21], v[36:37], v[62:63], v[20:21] op_sel_hi:[0,1,1]
	v_mov_b32_e32 v56, v49
	v_pk_fma_f32 v[20:21], v[36:37], v[56:57], v[20:21] op_sel:[1,0,0]
	v_mov_b32_e32 v36, v50
	v_mov_b32_e32 v37, v58
	v_pk_fma_f32 v[20:21], v[38:39], v[36:37], v[20:21] op_sel_hi:[0,1,1]
	v_mov_b32_e32 v36, v39
	v_mov_b32_e32 v58, v51
	;; [unrolled: 1-line block ×3, first 2 shown]
	v_pk_fma_f32 v[48:49], v[36:37], v[58:59], v[20:21] op_sel_hi:[0,1,1]
	v_pk_mul_f32 v[36:37], v[38:39], v[46:47]
	v_pk_add_f32 v[22:23], v[22:23], v[32:33]
	v_mov_b32_e32 v61, v45
	v_mul_f32_e32 v20, v38, v34
	v_pk_add_f32 v[22:23], v[22:23], v[60:61]
	v_mov_b32_e32 v21, v36
	v_mul_f32_e32 v34, v39, v35
	v_pk_add_f32 v[20:21], v[22:23], v[20:21]
	v_mov_b32_e32 v35, v37
	v_pk_add_f32 v[44:45], v[20:21], v[34:35]
	ds_read_b128 v[20:23], v31 offset:1040
	ds_read_b128 v[36:39], v31 offset:528
	;; [unrolled: 1-line block ×3, first 2 shown]
	v_mov_b32_e32 v50, v52
	s_add_i32 s14, s14, 64
	s_waitcnt lgkmcnt(2)
	v_mul_f32_e32 v20, v40, v20
	s_waitcnt lgkmcnt(1)
	v_mov_b32_e32 v51, v36
	s_waitcnt lgkmcnt(0)
	v_pk_mul_f32 v[32:33], v[40:41], v[32:33]
	v_pk_fma_f32 v[48:49], v[40:41], v[50:51], v[48:49] op_sel_hi:[0,1,1]
	v_mov_b32_e32 v36, v53
	v_mul_f32_e32 v46, v41, v21
	v_pk_fma_f32 v[36:37], v[40:41], v[36:37], v[48:49] op_sel:[1,0,0]
	v_mov_b32_e32 v40, v54
	v_mov_b32_e32 v41, v38
	v_mov_b32_e32 v21, v32
	v_pk_fma_f32 v[36:37], v[42:43], v[40:41], v[36:37] op_sel_hi:[0,1,1]
	v_mov_b32_e32 v40, v43
	v_mov_b32_e32 v38, v55
	v_pk_mul_f32 v[34:35], v[42:43], v[34:35]
	v_pk_add_f32 v[20:21], v[44:45], v[20:21]
	v_mov_b32_e32 v47, v33
	v_pk_fma_f32 v[40:41], v[40:41], v[38:39], v[36:37] op_sel_hi:[0,1,1]
	v_mul_f32_e32 v22, v42, v22
	v_mul_f32_e32 v36, v43, v23
	v_pk_add_f32 v[20:21], v[20:21], v[46:47]
	v_mov_b32_e32 v23, v34
	v_pk_add_f32 v[20:21], v[20:21], v[22:23]
	v_mov_b32_e32 v37, v35
	v_pk_add_f32 v[42:43], v[20:21], v[36:37]
	ds_read_b128 v[20:23], v31 offset:1056
	ds_read_b128 v[36:39], v31 offset:544
	;; [unrolled: 1-line block ×3, first 2 shown]
	v_mov_b32_e32 v46, v12
	v_mov_b32_e32 v12, v14
	s_waitcnt lgkmcnt(2)
	v_mul_f32_e32 v20, v8, v20
	s_waitcnt lgkmcnt(1)
	v_mov_b32_e32 v47, v36
	v_pk_fma_f32 v[40:41], v[8:9], v[46:47], v[40:41] op_sel_hi:[0,1,1]
	v_mov_b32_e32 v36, v13
	v_mul_f32_e32 v44, v9, v21
	s_waitcnt lgkmcnt(0)
	v_pk_mul_f32 v[32:33], v[8:9], v[32:33]
	v_pk_fma_f32 v[8:9], v[8:9], v[36:37], v[40:41] op_sel:[1,0,0]
	v_mov_b32_e32 v13, v38
	v_pk_fma_f32 v[8:9], v[10:11], v[12:13], v[8:9] op_sel_hi:[0,1,1]
	v_mov_b32_e32 v12, v11
	v_mov_b32_e32 v38, v15
	;; [unrolled: 1-line block ×3, first 2 shown]
	v_pk_fma_f32 v[40:41], v[12:13], v[38:39], v[8:9] op_sel_hi:[0,1,1]
	v_mul_f32_e32 v8, v10, v22
	v_mul_f32_e32 v12, v11, v23
	v_pk_add_f32 v[14:15], v[42:43], v[20:21]
	ds_read_b128 v[20:23], v31 offset:1072
	ds_read_b128 v[36:39], v31 offset:560
	v_pk_mul_f32 v[10:11], v[10:11], v[34:35]
	v_mov_b32_e32 v45, v33
	ds_read_b128 v[32:35], v31 offset:1584
	v_pk_add_f32 v[14:15], v[14:15], v[44:45]
	v_mov_b32_e32 v9, v10
	v_pk_add_f32 v[8:9], v[14:15], v[8:9]
	v_mov_b32_e32 v13, v11
	v_pk_add_f32 v[10:11], v[8:9], v[12:13]
	s_waitcnt lgkmcnt(2)
	v_mul_f32_e32 v14, v0, v20
	v_mul_f32_e32 v8, v1, v21
	v_mov_b32_e32 v20, v4
	s_waitcnt lgkmcnt(1)
	v_mov_b32_e32 v21, v36
	v_pk_fma_f32 v[20:21], v[0:1], v[20:21], v[40:41] op_sel_hi:[0,1,1]
	v_mov_b32_e32 v36, v5
	s_waitcnt lgkmcnt(0)
	v_pk_mul_f32 v[12:13], v[0:1], v[32:33]
	v_pk_fma_f32 v[0:1], v[0:1], v[36:37], v[20:21] op_sel:[1,0,0]
	v_mov_b32_e32 v4, v6
	v_mov_b32_e32 v5, v38
	v_pk_fma_f32 v[0:1], v[2:3], v[4:5], v[0:1] op_sel_hi:[0,1,1]
	v_mov_b32_e32 v4, v3
	v_mov_b32_e32 v38, v7
	;; [unrolled: 1-line block ×3, first 2 shown]
	v_pk_fma_f32 v[20:21], v[4:5], v[38:39], v[0:1] op_sel_hi:[0,1,1]
	v_mul_f32_e32 v0, v2, v22
	v_mul_f32_e32 v4, v3, v23
	v_pk_mul_f32 v[2:3], v[2:3], v[34:35]
	v_pk_add_f32 v[6:7], v[10:11], v[14:15]
	v_mov_b32_e32 v9, v13
	v_pk_add_f32 v[6:7], v[6:7], v[8:9]
	v_mov_b32_e32 v1, v2
	;; [unrolled: 2-line block ×3, first 2 shown]
	v_pk_add_f32 v[22:23], v[0:1], v[4:5]
	s_cmpk_eq_i32 s14, 0x200
	s_cbranch_scc0 .LBB4_11
; %bb.12:                               ;   in Loop: Header=BB4_9 Depth=1
	ds_write2_b32 v29, v20, v21 offset1:16
	ds_write2_b32 v29, v22, v23 offset0:32 offset1:48
.LBB4_13:                               ;   in Loop: Header=BB4_9 Depth=1
	s_or_b64 exec, exec, s[4:5]
	s_waitcnt lgkmcnt(0)
	s_barrier
	s_and_saveexec_b64 s[14:15], s[0:1]
	s_cbranch_execz .LBB4_15
; %bb.14:                               ;   in Loop: Header=BB4_9 Depth=1
	ds_read2_b32 v[0:1], v26 offset1:16
	s_or_b32 s4, s19, 1
	v_mov_b32_e32 v2, s19
	v_mov_b32_e32 v4, s4
	s_waitcnt lgkmcnt(0)
	v_cmp_gt_f32_e64 s[4:5], v0, v19
	s_nop 1
	v_cndmask_b32_e64 v5, v30, v2, s[4:5]
	ds_read2_b32 v[2:3], v26 offset0:32 offset1:48
	v_cndmask_b32_e64 v0, v19, v0, s[4:5]
	v_cmp_gt_f32_e64 s[4:5], v1, v0
	s_nop 1
	v_cndmask_b32_e64 v4, v5, v4, s[4:5]
	v_cndmask_b32_e64 v0, v0, v1, s[4:5]
	s_or_b32 s4, s19, 2
	v_mov_b32_e32 v1, s4
	s_waitcnt lgkmcnt(0)
	v_cmp_gt_f32_e64 s[4:5], v2, v0
	s_nop 1
	v_cndmask_b32_e64 v4, v4, v1, s[4:5]
	v_cndmask_b32_e64 v2, v0, v2, s[4:5]
	ds_read2_b32 v[0:1], v26 offset0:64 offset1:80
	s_or_b32 s4, s19, 3
	v_mov_b32_e32 v5, s4
	v_cmp_gt_f32_e64 s[4:5], v3, v2
	s_nop 1
	v_cndmask_b32_e64 v4, v4, v5, s[4:5]
	v_cndmask_b32_e64 v2, v2, v3, s[4:5]
	s_or_b32 s4, s19, 4
	v_mov_b32_e32 v3, s4
	s_waitcnt lgkmcnt(0)
	v_cmp_gt_f32_e64 s[4:5], v0, v2
	s_nop 1
	v_cndmask_b32_e64 v4, v4, v3, s[4:5]
	v_cndmask_b32_e64 v0, v2, v0, s[4:5]
	ds_read2_b32 v[2:3], v26 offset0:96 offset1:112
	s_or_b32 s4, s19, 5
	v_mov_b32_e32 v5, s4
	;; [unrolled: 14-line block ×6, first 2 shown]
	v_cmp_gt_f32_e64 s[4:5], v1, v0
	s_nop 1
	v_cndmask_b32_e64 v4, v4, v5, s[4:5]
	v_cndmask_b32_e64 v0, v0, v1, s[4:5]
	s_or_b32 s4, s19, 14
	v_mov_b32_e32 v1, s4
	s_waitcnt lgkmcnt(0)
	v_cmp_gt_f32_e64 s[4:5], v2, v0
	s_nop 1
	v_cndmask_b32_e64 v1, v4, v1, s[4:5]
	v_cndmask_b32_e64 v0, v0, v2, s[4:5]
	s_or_b32 s4, s19, 15
	v_mov_b32_e32 v2, s4
	v_cmp_gt_f32_e64 s[4:5], v3, v0
	s_nop 1
	v_cndmask_b32_e64 v30, v1, v2, s[4:5]
	v_cndmask_b32_e64 v19, v0, v3, s[4:5]
.LBB4_15:                               ;   in Loop: Header=BB4_9 Depth=1
	s_or_b64 exec, exec, s[14:15]
	s_add_i32 s4, s19, 16
	s_cmpk_gt_u32 s19, 0x3fef
	v_lshl_add_u64 v[16:17], v[16:17], 0, s[12:13]
	s_barrier
	s_cbranch_scc1 .LBB4_17
; %bb.16:                               ;   in Loop: Header=BB4_9 Depth=1
	s_mov_b32 s19, s4
	s_and_saveexec_b64 s[14:15], vcc
	s_cbranch_execnz .LBB4_7
	s_branch .LBB4_9
.LBB4_17:
	s_and_saveexec_b64 s[2:3], s[0:1]
	s_cbranch_execz .LBB4_19
; %bb.18:
	v_add_u32_e32 v0, s18, v24
	v_ashrrev_i32_e32 v1, 31, v0
	v_lshlrev_b64 v[0:1], 2, v[0:1]
	v_lshl_add_u64 v[2:3], s[8:9], 0, v[0:1]
	v_lshl_add_u64 v[0:1], s[6:7], 0, v[0:1]
	global_store_dword v[0:1], v19, off
	global_store_dword v[2:3], v30, off
.LBB4_19:
	s_endpgm
	.section	.rodata,"a",@progbits
	.p2align	6, 0x0
	.amdhsa_kernel _Z6Match5PKfS0_PfPi
		.amdhsa_group_segment_fixed_size 17664
		.amdhsa_private_segment_fixed_size 0
		.amdhsa_kernarg_size 32
		.amdhsa_user_sgpr_count 2
		.amdhsa_user_sgpr_dispatch_ptr 0
		.amdhsa_user_sgpr_queue_ptr 0
		.amdhsa_user_sgpr_kernarg_segment_ptr 1
		.amdhsa_user_sgpr_dispatch_id 0
		.amdhsa_user_sgpr_kernarg_preload_length 0
		.amdhsa_user_sgpr_kernarg_preload_offset 0
		.amdhsa_user_sgpr_private_segment_size 0
		.amdhsa_uses_dynamic_stack 0
		.amdhsa_enable_private_segment 0
		.amdhsa_system_sgpr_workgroup_id_x 1
		.amdhsa_system_sgpr_workgroup_id_y 0
		.amdhsa_system_sgpr_workgroup_id_z 0
		.amdhsa_system_sgpr_workgroup_info 0
		.amdhsa_system_vgpr_workitem_id 1
		.amdhsa_next_free_vgpr 64
		.amdhsa_next_free_sgpr 20
		.amdhsa_accum_offset 64
		.amdhsa_reserve_vcc 1
		.amdhsa_float_round_mode_32 0
		.amdhsa_float_round_mode_16_64 0
		.amdhsa_float_denorm_mode_32 3
		.amdhsa_float_denorm_mode_16_64 3
		.amdhsa_dx10_clamp 1
		.amdhsa_ieee_mode 1
		.amdhsa_fp16_overflow 0
		.amdhsa_tg_split 0
		.amdhsa_exception_fp_ieee_invalid_op 0
		.amdhsa_exception_fp_denorm_src 0
		.amdhsa_exception_fp_ieee_div_zero 0
		.amdhsa_exception_fp_ieee_overflow 0
		.amdhsa_exception_fp_ieee_underflow 0
		.amdhsa_exception_fp_ieee_inexact 0
		.amdhsa_exception_int_div_zero 0
	.end_amdhsa_kernel
	.text
.Lfunc_end4:
	.size	_Z6Match5PKfS0_PfPi, .Lfunc_end4-_Z6Match5PKfS0_PfPi
                                        ; -- End function
	.set _Z6Match5PKfS0_PfPi.num_vgpr, 64
	.set _Z6Match5PKfS0_PfPi.num_agpr, 0
	.set _Z6Match5PKfS0_PfPi.numbered_sgpr, 20
	.set _Z6Match5PKfS0_PfPi.num_named_barrier, 0
	.set _Z6Match5PKfS0_PfPi.private_seg_size, 0
	.set _Z6Match5PKfS0_PfPi.uses_vcc, 1
	.set _Z6Match5PKfS0_PfPi.uses_flat_scratch, 0
	.set _Z6Match5PKfS0_PfPi.has_dyn_sized_stack, 0
	.set _Z6Match5PKfS0_PfPi.has_recursion, 0
	.set _Z6Match5PKfS0_PfPi.has_indirect_call, 0
	.section	.AMDGPU.csdata,"",@progbits
; Kernel info:
; codeLenInByte = 2068
; TotalNumSgprs: 26
; NumVgprs: 64
; NumAgprs: 0
; TotalNumVgprs: 64
; ScratchSize: 0
; MemoryBound: 0
; FloatMode: 240
; IeeeMode: 1
; LDSByteSize: 17664 bytes/workgroup (compile time only)
; SGPRBlocks: 3
; VGPRBlocks: 7
; NumSGPRsForWavesPerEU: 26
; NumVGPRsForWavesPerEU: 64
; AccumOffset: 64
; Occupancy: 8
; WaveLimiterHint : 0
; COMPUTE_PGM_RSRC2:SCRATCH_EN: 0
; COMPUTE_PGM_RSRC2:USER_SGPR: 2
; COMPUTE_PGM_RSRC2:TRAP_HANDLER: 0
; COMPUTE_PGM_RSRC2:TGID_X_EN: 1
; COMPUTE_PGM_RSRC2:TGID_Y_EN: 0
; COMPUTE_PGM_RSRC2:TGID_Z_EN: 0
; COMPUTE_PGM_RSRC2:TIDIG_COMP_CNT: 1
; COMPUTE_PGM_RSRC3_GFX90A:ACCUM_OFFSET: 15
; COMPUTE_PGM_RSRC3_GFX90A:TG_SPLIT: 0
	.text
	.protected	_Z6Match6PKfS0_PfPi     ; -- Begin function _Z6Match6PKfS0_PfPi
	.globl	_Z6Match6PKfS0_PfPi
	.p2align	8
	.type	_Z6Match6PKfS0_PfPi,@function
_Z6Match6PKfS0_PfPi:                    ; @_Z6Match6PKfS0_PfPi
; %bb.0:
	v_and_b32_e32 v24, 0x3ff, v0
	v_bfe_u32 v25, v0, 10, 10
	v_cmp_lt_u32_e64 s[4:5], 15, v25
	v_cmp_lt_u32_e64 s[6:7], 31, v24
	v_cmp_gt_u32_e32 vcc, 32, v24
	s_or_b64 s[4:5], s[4:5], s[6:7]
	v_lshlrev_b32_e32 v0, 4, v24
	s_and_saveexec_b64 s[6:7], s[4:5]
	s_xor_b64 s[4:5], exec, s[6:7]
; %bb.1:
	v_lshlrev_b32_e32 v0, 4, v24
; %bb.2:
	s_or_saveexec_b64 s[4:5], s[4:5]
	s_lshl_b32 s16, s2, 4
	s_xor_b64 exec, exec, s[4:5]
	s_cbranch_execz .LBB5_6
; %bb.3:
	s_load_dwordx2 s[6:7], s[0:1], 0x0
	v_or_b32_e32 v1, s16, v25
	s_movk_i32 s2, 0x210
	v_lshlrev_b32_e32 v1, 5, v1
	v_mad_u32_u24 v2, v25, s2, v0
	s_mov_b64 s[8:9], 0
	v_mov_b32_e32 v3, v24
.LBB5_4:                                ; =>This Inner Loop Header: Depth=1
	v_add_u32_e32 v4, v1, v3
	v_ashrrev_i32_e32 v5, 31, v4
	s_waitcnt lgkmcnt(0)
	v_lshl_add_u64 v[4:5], v[4:5], 4, s[6:7]
	global_load_dwordx4 v[4:7], v[4:5], off
	v_add_u32_e32 v8, 16, v3
	v_cmp_lt_u32_e64 s[2:3], 15, v3
	s_or_b64 s[8:9], s[2:3], s[8:9]
	v_mov_b32_e32 v3, v8
	s_waitcnt vmcnt(0)
	ds_write_b128 v2, v[4:7]
	v_add_u32_e32 v2, 0x100, v2
	s_andn2_b64 exec, exec, s[8:9]
	s_cbranch_execnz .LBB5_4
; %bb.5:
	s_or_b64 exec, exec, s[8:9]
.LBB5_6:
	s_or_b64 exec, exec, s[4:5]
	s_load_dwordx4 s[4:7], s[0:1], 0x8
	s_load_dwordx2 s[8:9], s[0:1], 0x18
	v_lshlrev_b32_e32 v1, 9, v25
	s_movk_i32 s2, 0x2100
	v_add3_u32 v29, v1, v0, s2
	v_lshlrev_b32_e32 v0, 5, v25
	v_add_lshl_u32 v18, v24, v0, 4
	v_mov_b32_e32 v19, 0
	v_mov_b32_e32 v0, 0x2100
	v_cmp_gt_u32_e64 s[0:1], 4, v25
	v_mul_u32_u24_e32 v26, 0x210, v24
	v_lshlrev_b32_e32 v27, 2, v25
	v_add_u32_e32 v28, -16, v24
	s_waitcnt lgkmcnt(0)
	v_lshl_add_u64 v[16:17], s[4:5], 0, v[18:19]
	v_lshl_add_u32 v18, v25, 11, v0
	s_mov_b32 s17, 0
	v_mov_b32_e32 v30, -1
	s_mov_b64 s[4:5], 0x100
	s_mov_b64 s[10:11], 0x2000
	s_and_saveexec_b64 s[12:13], vcc
	s_cbranch_execz .LBB5_9
.LBB5_7:
	s_mov_b64 s[14:15], 0
	v_mov_b64_e32 v[0:1], v[16:17]
	v_mov_b32_e32 v2, v29
	v_mov_b32_e32 v3, v28
.LBB5_8:                                ; =>This Inner Loop Header: Depth=1
	global_load_dwordx4 v[4:7], v[0:1], off
	v_add_co_u32_e64 v3, s[2:3], 16, v3
	s_xor_b64 s[2:3], s[2:3], -1
	s_and_b64 s[2:3], exec, s[2:3]
	v_lshl_add_u64 v[0:1], v[0:1], 0, s[4:5]
	s_or_b64 s[14:15], s[2:3], s[14:15]
	s_waitcnt vmcnt(0)
	ds_write_b128 v2, v[4:7]
	v_add_u32_e32 v2, 0x100, v2
	s_andn2_b64 exec, exec, s[14:15]
	s_cbranch_execnz .LBB5_8
.LBB5_9:                                ; =>This Loop Header: Depth=1
                                        ;     Child Loop BB5_11 Depth 2
	s_or_b64 exec, exec, s[12:13]
	s_waitcnt lgkmcnt(0)
	s_barrier
	s_and_saveexec_b64 s[12:13], s[0:1]
	s_cbranch_execz .LBB5_13
; %bb.10:                               ;   in Loop: Header=BB5_9 Depth=1
	v_mov_b32_e32 v20, 0
	s_mov_b32 s2, 0
	v_mov_b32_e32 v21, v20
	v_mov_b32_e32 v22, v20
	;; [unrolled: 1-line block ×3, first 2 shown]
.LBB5_11:                               ;   Parent Loop BB5_9 Depth=1
                                        ; =>  This Inner Loop Header: Depth=2
	v_add_u32_e32 v0, s2, v26
	v_add_u32_e32 v31, s2, v18
	ds_read_b128 v[32:35], v31 offset:1024
	ds_read_b128 v[36:39], v0
	ds_read_b128 v[40:43], v0 offset:16
	ds_read_b128 v[8:11], v0 offset:32
	ds_read_b128 v[0:3], v0 offset:48
	ds_read_b128 v[44:47], v31 offset:1536
	ds_read_b128 v[48:51], v31
	ds_read_b128 v[52:55], v31 offset:16
	ds_read_b128 v[12:15], v31 offset:32
	;; [unrolled: 1-line block ×4, first 2 shown]
	s_waitcnt lgkmcnt(4)
	v_mov_b32_e32 v62, v48
	v_mul_f32_e32 v32, v36, v32
	v_mul_f32_e32 v60, v37, v33
	v_pk_mul_f32 v[44:45], v[36:37], v[44:45]
	s_waitcnt lgkmcnt(0)
	v_mov_b32_e32 v63, v56
	v_pk_fma_f32 v[20:21], v[36:37], v[62:63], v[20:21] op_sel_hi:[0,1,1]
	v_mov_b32_e32 v56, v49
	v_pk_fma_f32 v[20:21], v[36:37], v[56:57], v[20:21] op_sel:[1,0,0]
	v_mov_b32_e32 v36, v50
	v_mov_b32_e32 v37, v58
	v_pk_fma_f32 v[20:21], v[38:39], v[36:37], v[20:21] op_sel_hi:[0,1,1]
	v_mov_b32_e32 v36, v39
	v_mov_b32_e32 v58, v51
	;; [unrolled: 1-line block ×3, first 2 shown]
	v_pk_fma_f32 v[48:49], v[36:37], v[58:59], v[20:21] op_sel_hi:[0,1,1]
	v_pk_mul_f32 v[36:37], v[38:39], v[46:47]
	v_pk_add_f32 v[22:23], v[22:23], v[32:33]
	v_mov_b32_e32 v61, v45
	v_mul_f32_e32 v20, v38, v34
	v_pk_add_f32 v[22:23], v[22:23], v[60:61]
	v_mov_b32_e32 v21, v36
	v_mul_f32_e32 v34, v39, v35
	v_pk_add_f32 v[20:21], v[22:23], v[20:21]
	v_mov_b32_e32 v35, v37
	v_pk_add_f32 v[44:45], v[20:21], v[34:35]
	ds_read_b128 v[20:23], v31 offset:1040
	ds_read_b128 v[36:39], v31 offset:528
	;; [unrolled: 1-line block ×3, first 2 shown]
	v_mov_b32_e32 v50, v52
	s_add_i32 s2, s2, 64
	s_waitcnt lgkmcnt(2)
	v_mul_f32_e32 v20, v40, v20
	s_waitcnt lgkmcnt(1)
	v_mov_b32_e32 v51, v36
	s_waitcnt lgkmcnt(0)
	v_pk_mul_f32 v[32:33], v[40:41], v[32:33]
	v_pk_fma_f32 v[48:49], v[40:41], v[50:51], v[48:49] op_sel_hi:[0,1,1]
	v_mov_b32_e32 v36, v53
	v_mul_f32_e32 v46, v41, v21
	v_pk_fma_f32 v[36:37], v[40:41], v[36:37], v[48:49] op_sel:[1,0,0]
	v_mov_b32_e32 v40, v54
	v_mov_b32_e32 v41, v38
	;; [unrolled: 1-line block ×3, first 2 shown]
	v_pk_fma_f32 v[36:37], v[42:43], v[40:41], v[36:37] op_sel_hi:[0,1,1]
	v_mov_b32_e32 v40, v43
	v_mov_b32_e32 v38, v55
	v_pk_mul_f32 v[34:35], v[42:43], v[34:35]
	v_pk_add_f32 v[20:21], v[44:45], v[20:21]
	v_mov_b32_e32 v47, v33
	v_pk_fma_f32 v[40:41], v[40:41], v[38:39], v[36:37] op_sel_hi:[0,1,1]
	v_mul_f32_e32 v22, v42, v22
	v_mul_f32_e32 v36, v43, v23
	v_pk_add_f32 v[20:21], v[20:21], v[46:47]
	v_mov_b32_e32 v23, v34
	v_pk_add_f32 v[20:21], v[20:21], v[22:23]
	v_mov_b32_e32 v37, v35
	v_pk_add_f32 v[42:43], v[20:21], v[36:37]
	ds_read_b128 v[20:23], v31 offset:1056
	ds_read_b128 v[36:39], v31 offset:544
	;; [unrolled: 1-line block ×3, first 2 shown]
	v_mov_b32_e32 v46, v12
	v_mov_b32_e32 v12, v14
	s_waitcnt lgkmcnt(2)
	v_mul_f32_e32 v20, v8, v20
	s_waitcnt lgkmcnt(1)
	v_mov_b32_e32 v47, v36
	v_pk_fma_f32 v[40:41], v[8:9], v[46:47], v[40:41] op_sel_hi:[0,1,1]
	v_mov_b32_e32 v36, v13
	v_mul_f32_e32 v44, v9, v21
	s_waitcnt lgkmcnt(0)
	v_pk_mul_f32 v[32:33], v[8:9], v[32:33]
	v_pk_fma_f32 v[8:9], v[8:9], v[36:37], v[40:41] op_sel:[1,0,0]
	v_mov_b32_e32 v13, v38
	v_pk_fma_f32 v[8:9], v[10:11], v[12:13], v[8:9] op_sel_hi:[0,1,1]
	v_mov_b32_e32 v12, v11
	v_mov_b32_e32 v38, v15
	;; [unrolled: 1-line block ×3, first 2 shown]
	v_pk_fma_f32 v[40:41], v[12:13], v[38:39], v[8:9] op_sel_hi:[0,1,1]
	v_mul_f32_e32 v8, v10, v22
	v_mul_f32_e32 v12, v11, v23
	v_pk_add_f32 v[14:15], v[42:43], v[20:21]
	ds_read_b128 v[20:23], v31 offset:1072
	ds_read_b128 v[36:39], v31 offset:560
	v_pk_mul_f32 v[10:11], v[10:11], v[34:35]
	v_mov_b32_e32 v45, v33
	ds_read_b128 v[32:35], v31 offset:1584
	v_pk_add_f32 v[14:15], v[14:15], v[44:45]
	v_mov_b32_e32 v9, v10
	v_pk_add_f32 v[8:9], v[14:15], v[8:9]
	v_mov_b32_e32 v13, v11
	v_pk_add_f32 v[10:11], v[8:9], v[12:13]
	s_waitcnt lgkmcnt(2)
	v_mul_f32_e32 v14, v0, v20
	v_mul_f32_e32 v8, v1, v21
	v_mov_b32_e32 v20, v4
	s_waitcnt lgkmcnt(1)
	v_mov_b32_e32 v21, v36
	v_pk_fma_f32 v[20:21], v[0:1], v[20:21], v[40:41] op_sel_hi:[0,1,1]
	v_mov_b32_e32 v36, v5
	s_waitcnt lgkmcnt(0)
	v_pk_mul_f32 v[12:13], v[0:1], v[32:33]
	v_pk_fma_f32 v[0:1], v[0:1], v[36:37], v[20:21] op_sel:[1,0,0]
	v_mov_b32_e32 v4, v6
	v_mov_b32_e32 v5, v38
	v_pk_fma_f32 v[0:1], v[2:3], v[4:5], v[0:1] op_sel_hi:[0,1,1]
	v_mov_b32_e32 v4, v3
	v_mov_b32_e32 v38, v7
	;; [unrolled: 1-line block ×3, first 2 shown]
	v_pk_fma_f32 v[20:21], v[4:5], v[38:39], v[0:1] op_sel_hi:[0,1,1]
	v_mul_f32_e32 v0, v2, v22
	v_mul_f32_e32 v4, v3, v23
	v_pk_mul_f32 v[2:3], v[2:3], v[34:35]
	v_pk_add_f32 v[6:7], v[10:11], v[14:15]
	v_mov_b32_e32 v9, v13
	v_pk_add_f32 v[6:7], v[6:7], v[8:9]
	v_mov_b32_e32 v1, v2
	;; [unrolled: 2-line block ×3, first 2 shown]
	v_pk_add_f32 v[22:23], v[0:1], v[4:5]
	s_cmpk_eq_i32 s2, 0x200
	s_cbranch_scc0 .LBB5_11
; %bb.12:                               ;   in Loop: Header=BB5_9 Depth=1
	v_cmp_gt_f32_e64 s[2:3], v20, v19
	v_or_b32_e32 v0, s17, v27
	v_or_b32_e32 v3, 1, v0
	v_cndmask_b32_e64 v2, v19, v20, s[2:3]
	v_cndmask_b32_e64 v1, v30, v0, s[2:3]
	v_cmp_gt_f32_e64 s[2:3], v21, v2
	s_nop 1
	v_cndmask_b32_e64 v2, v2, v21, s[2:3]
	v_cndmask_b32_e64 v1, v1, v3, s[2:3]
	v_cmp_gt_f32_e64 s[2:3], v22, v2
	v_or_b32_e32 v3, 2, v0
	v_or_b32_e32 v0, 3, v0
	v_cndmask_b32_e64 v2, v2, v22, s[2:3]
	v_cndmask_b32_e64 v1, v1, v3, s[2:3]
	v_cmp_gt_f32_e64 s[2:3], v23, v2
	s_nop 1
	v_cndmask_b32_e64 v30, v1, v0, s[2:3]
	v_cndmask_b32_e64 v19, v2, v23, s[2:3]
.LBB5_13:                               ;   in Loop: Header=BB5_9 Depth=1
	s_or_b64 exec, exec, s[12:13]
	s_add_i32 s2, s17, 16
	s_cmpk_gt_u32 s17, 0x3fef
	v_lshl_add_u64 v[16:17], v[16:17], 0, s[10:11]
	s_barrier
	s_cbranch_scc1 .LBB5_15
; %bb.14:                               ;   in Loop: Header=BB5_9 Depth=1
	s_mov_b32 s17, s2
	s_and_saveexec_b64 s[12:13], vcc
	s_cbranch_execnz .LBB5_7
	s_branch .LBB5_9
.LBB5_15:
	s_and_saveexec_b64 s[2:3], s[0:1]
; %bb.16:
	v_lshlrev_b32_e32 v0, 4, v25
	v_add_lshl_u32 v0, v0, v24, 2
	ds_write2st64_b32 v0, v19, v30 offset1:1
; %bb.17:
	s_or_b64 exec, exec, s[2:3]
	v_cmp_eq_u32_e32 vcc, 0, v25
	s_waitcnt lgkmcnt(0)
	s_barrier
	s_and_saveexec_b64 s[0:1], vcc
	s_cbranch_execz .LBB5_19
; %bb.18:
	v_lshlrev_b32_e32 v2, 2, v24
	ds_read2_b32 v[0:1], v2 offset1:16
	ds_read2_b32 v[2:3], v2 offset0:32 offset1:48
	v_add_u32_e32 v4, 16, v24
	v_add_u32_e32 v5, 32, v24
	s_waitcnt lgkmcnt(1)
	v_cmp_gt_f32_e32 vcc, v1, v0
	s_nop 1
	v_cndmask_b32_e32 v0, v0, v1, vcc
	v_cndmask_b32_e32 v4, v24, v4, vcc
	s_waitcnt lgkmcnt(0)
	v_cmp_gt_f32_e32 vcc, v2, v0
	s_nop 1
	v_cndmask_b32_e32 v0, v0, v2, vcc
	v_cndmask_b32_e32 v1, v4, v5, vcc
	v_add_u32_e32 v2, 48, v24
	v_cmp_gt_f32_e32 vcc, v3, v0
	s_nop 1
	v_cndmask_b32_e32 v1, v1, v2, vcc
	v_cndmask_b32_e32 v4, v0, v3, vcc
	v_lshlrev_b32_e32 v0, 2, v1
	ds_read_b32 v5, v0 offset:256
	v_add_u32_e32 v0, s16, v24
	v_ashrrev_i32_e32 v1, 31, v0
	v_lshlrev_b64 v[0:1], 2, v[0:1]
	v_lshl_add_u64 v[2:3], s[6:7], 0, v[0:1]
	v_lshl_add_u64 v[0:1], s[8:9], 0, v[0:1]
	global_store_dword v[2:3], v4, off
	s_waitcnt lgkmcnt(0)
	global_store_dword v[0:1], v5, off
.LBB5_19:
	s_endpgm
	.section	.rodata,"a",@progbits
	.p2align	6, 0x0
	.amdhsa_kernel _Z6Match6PKfS0_PfPi
		.amdhsa_group_segment_fixed_size 16640
		.amdhsa_private_segment_fixed_size 0
		.amdhsa_kernarg_size 32
		.amdhsa_user_sgpr_count 2
		.amdhsa_user_sgpr_dispatch_ptr 0
		.amdhsa_user_sgpr_queue_ptr 0
		.amdhsa_user_sgpr_kernarg_segment_ptr 1
		.amdhsa_user_sgpr_dispatch_id 0
		.amdhsa_user_sgpr_kernarg_preload_length 0
		.amdhsa_user_sgpr_kernarg_preload_offset 0
		.amdhsa_user_sgpr_private_segment_size 0
		.amdhsa_uses_dynamic_stack 0
		.amdhsa_enable_private_segment 0
		.amdhsa_system_sgpr_workgroup_id_x 1
		.amdhsa_system_sgpr_workgroup_id_y 0
		.amdhsa_system_sgpr_workgroup_id_z 0
		.amdhsa_system_sgpr_workgroup_info 0
		.amdhsa_system_vgpr_workitem_id 1
		.amdhsa_next_free_vgpr 64
		.amdhsa_next_free_sgpr 18
		.amdhsa_accum_offset 64
		.amdhsa_reserve_vcc 1
		.amdhsa_float_round_mode_32 0
		.amdhsa_float_round_mode_16_64 0
		.amdhsa_float_denorm_mode_32 3
		.amdhsa_float_denorm_mode_16_64 3
		.amdhsa_dx10_clamp 1
		.amdhsa_ieee_mode 1
		.amdhsa_fp16_overflow 0
		.amdhsa_tg_split 0
		.amdhsa_exception_fp_ieee_invalid_op 0
		.amdhsa_exception_fp_denorm_src 0
		.amdhsa_exception_fp_ieee_div_zero 0
		.amdhsa_exception_fp_ieee_overflow 0
		.amdhsa_exception_fp_ieee_underflow 0
		.amdhsa_exception_fp_ieee_inexact 0
		.amdhsa_exception_int_div_zero 0
	.end_amdhsa_kernel
	.text
.Lfunc_end5:
	.size	_Z6Match6PKfS0_PfPi, .Lfunc_end5-_Z6Match6PKfS0_PfPi
                                        ; -- End function
	.set _Z6Match6PKfS0_PfPi.num_vgpr, 64
	.set _Z6Match6PKfS0_PfPi.num_agpr, 0
	.set _Z6Match6PKfS0_PfPi.numbered_sgpr, 18
	.set _Z6Match6PKfS0_PfPi.num_named_barrier, 0
	.set _Z6Match6PKfS0_PfPi.private_seg_size, 0
	.set _Z6Match6PKfS0_PfPi.uses_vcc, 1
	.set _Z6Match6PKfS0_PfPi.uses_flat_scratch, 0
	.set _Z6Match6PKfS0_PfPi.has_dyn_sized_stack, 0
	.set _Z6Match6PKfS0_PfPi.has_recursion, 0
	.set _Z6Match6PKfS0_PfPi.has_indirect_call, 0
	.section	.AMDGPU.csdata,"",@progbits
; Kernel info:
; codeLenInByte = 1596
; TotalNumSgprs: 24
; NumVgprs: 64
; NumAgprs: 0
; TotalNumVgprs: 64
; ScratchSize: 0
; MemoryBound: 0
; FloatMode: 240
; IeeeMode: 1
; LDSByteSize: 16640 bytes/workgroup (compile time only)
; SGPRBlocks: 2
; VGPRBlocks: 7
; NumSGPRsForWavesPerEU: 24
; NumVGPRsForWavesPerEU: 64
; AccumOffset: 64
; Occupancy: 8
; WaveLimiterHint : 0
; COMPUTE_PGM_RSRC2:SCRATCH_EN: 0
; COMPUTE_PGM_RSRC2:USER_SGPR: 2
; COMPUTE_PGM_RSRC2:TRAP_HANDLER: 0
; COMPUTE_PGM_RSRC2:TGID_X_EN: 1
; COMPUTE_PGM_RSRC2:TGID_Y_EN: 0
; COMPUTE_PGM_RSRC2:TGID_Z_EN: 0
; COMPUTE_PGM_RSRC2:TIDIG_COMP_CNT: 1
; COMPUTE_PGM_RSRC3_GFX90A:ACCUM_OFFSET: 15
; COMPUTE_PGM_RSRC3_GFX90A:TG_SPLIT: 0
	.text
	.protected	_Z6Match7PKfS0_PfPi     ; -- Begin function _Z6Match7PKfS0_PfPi
	.globl	_Z6Match7PKfS0_PfPi
	.p2align	8
	.type	_Z6Match7PKfS0_PfPi,@function
_Z6Match7PKfS0_PfPi:                    ; @_Z6Match7PKfS0_PfPi
; %bb.0:
	s_movk_i32 s3, 0x3ff
	v_lshrrev_b32_e32 v1, 10, v0
	v_bfe_u32 v17, v0, 10, 10
	v_bitop3_b32 v1, v0, v1, s3 bitop3:0xa8
	v_cmp_gt_u32_e32 vcc, 32, v1
	v_cmp_lt_u32_e64 s[4:5], 31, v1
	v_lshlrev_b32_e32 v1, 9, v17
	v_lshlrev_b32_e32 v2, 5, v17
	s_and_saveexec_b64 s[6:7], s[4:5]
	s_xor_b64 s[4:5], exec, s[6:7]
; %bb.1:
	v_lshlrev_b32_e32 v1, 9, v17
	v_lshlrev_b32_e32 v2, 5, v17
; %bb.2:
	s_or_saveexec_b64 s[6:7], s[4:5]
	s_load_dwordx2 s[8:9], s[0:1], 0x8
	v_and_b32_e32 v16, 0x3ff, v0
	s_xor_b64 exec, exec, s[6:7]
	s_cbranch_execz .LBB6_6
; %bb.3:
	s_load_dwordx2 s[10:11], s[0:1], 0x0
	v_add_u32_e32 v0, v17, v16
	v_lshl_add_u32 v3, s2, 10, v2
	s_mov_b64 s[12:13], 0
	v_mov_b32_e32 v4, v1
	v_mov_b32_e32 v5, v17
.LBB6_4:                                ; =>This Inner Loop Header: Depth=1
	v_add_u32_e32 v6, v16, v3
	v_ashrrev_i32_e32 v7, 31, v6
	s_waitcnt lgkmcnt(0)
	v_lshl_add_u64 v[6:7], v[6:7], 4, s[10:11]
	global_load_dwordx4 v[6:9], v[6:7], off
	v_and_b32_e32 v10, 31, v0
	v_add_u32_e32 v11, 8, v5
	v_cmp_lt_u32_e64 s[4:5], 23, v5
	v_add_u16_e32 v0, 8, v0
	v_add_u32_e32 v3, 0x100, v3
	v_lshl_add_u32 v10, v10, 4, v4
	v_add_u32_e32 v4, 0x1000, v4
	s_or_b64 s[12:13], s[4:5], s[12:13]
	v_mov_b32_e32 v5, v11
	s_waitcnt vmcnt(0)
	ds_write_b128 v10, v[6:9]
	s_andn2_b64 exec, exec, s[12:13]
	s_cbranch_execnz .LBB6_4
; %bb.5:
	s_or_b64 exec, exec, s[12:13]
.LBB6_6:
	s_or_b64 exec, exec, s[6:7]
	s_load_dwordx4 s[4:7], s[0:1], 0x10
	v_lshlrev_b32_e32 v0, 4, v16
	s_movk_i32 s0, 0x4000
	v_add3_u32 v21, v1, v0, s0
	v_add_u32_e32 v8, v16, v2
	v_mov_b32_e32 v9, 0
	v_mov_b32_e32 v0, 0x4000
	v_lshlrev_b32_e32 v18, 9, v16
	v_lshlrev_b32_e32 v19, 2, v17
	v_add_u32_e32 v20, -8, v17
	s_waitcnt lgkmcnt(0)
	v_lshl_add_u64 v[10:11], v[8:9], 4, s[8:9]
	v_lshl_add_u32 v22, v17, 11, v0
	s_mov_b32 s3, 0
	v_mov_b32_e32 v23, -1
	s_mov_b64 s[8:9], 0x1000
	s_mov_b64 s[10:11], 0x4000
	s_and_saveexec_b64 s[12:13], vcc
	s_cbranch_execz .LBB6_9
.LBB6_7:
	s_mov_b64 s[14:15], 0
	v_mov_b64_e32 v[0:1], v[10:11]
	v_mov_b32_e32 v2, v21
	v_mov_b32_e32 v3, v20
.LBB6_8:                                ; =>This Inner Loop Header: Depth=1
	global_load_dwordx4 v[4:7], v[0:1], off
	v_add_u32_e32 v3, 8, v3
	v_cmp_lt_u32_e64 s[0:1], 23, v3
	v_lshl_add_u64 v[0:1], v[0:1], 0, s[8:9]
	s_or_b64 s[14:15], s[0:1], s[14:15]
	s_waitcnt vmcnt(0)
	ds_write_b128 v2, v[4:7]
	v_add_u32_e32 v2, 0x1000, v2
	s_andn2_b64 exec, exec, s[14:15]
	s_cbranch_execnz .LBB6_8
.LBB6_9:                                ; =>This Loop Header: Depth=1
                                        ;     Child Loop BB6_10 Depth 2
	s_or_b64 exec, exec, s[12:13]
	v_mov_b32_e32 v12, 0
	s_mov_b32 s0, 0
	v_mov_b32_e32 v24, v22
	v_mov_b32_e32 v13, v12
	v_mov_b32_e32 v14, v12
	v_mov_b32_e32 v15, v12
	s_waitcnt lgkmcnt(0)
	s_barrier
.LBB6_10:                               ;   Parent Loop BB6_9 Depth=1
                                        ; =>  This Inner Loop Header: Depth=2
	v_add_u32_e32 v25, s0, v16
	v_and_b32_e32 v0, 31, v25
	v_lshl_add_u32 v0, v0, 4, v18
	ds_read_b128 v[26:29], v24 offset:1024
	ds_read_b128 v[30:33], v0
	ds_read_b128 v[34:37], v24 offset:1536
	ds_read_b128 v[38:41], v24
	ds_read_b128 v[42:45], v24 offset:16
	ds_read_b128 v[4:7], v24 offset:32
	;; [unrolled: 1-line block ×4, first 2 shown]
	s_waitcnt lgkmcnt(4)
	v_mov_b32_e32 v52, v38
	s_add_i32 s0, s0, 4
	v_mul_f32_e32 v26, v30, v26
	v_mul_f32_e32 v50, v31, v27
	s_waitcnt lgkmcnt(0)
	v_mov_b32_e32 v53, v46
	v_pk_fma_f32 v[12:13], v[30:31], v[52:53], v[12:13] op_sel_hi:[0,1,1]
	v_mov_b32_e32 v46, v39
	v_pk_mul_f32 v[34:35], v[30:31], v[34:35]
	v_pk_fma_f32 v[12:13], v[30:31], v[46:47], v[12:13] op_sel:[1,0,0]
	v_mov_b32_e32 v30, v40
	v_mov_b32_e32 v31, v48
	v_pk_fma_f32 v[12:13], v[32:33], v[30:31], v[12:13] op_sel_hi:[0,1,1]
	v_mov_b32_e32 v30, v33
	v_mov_b32_e32 v48, v41
	;; [unrolled: 1-line block ×3, first 2 shown]
	v_pk_fma_f32 v[38:39], v[30:31], v[48:49], v[12:13] op_sel_hi:[0,1,1]
	v_pk_mul_f32 v[30:31], v[32:33], v[36:37]
	v_pk_add_f32 v[14:15], v[14:15], v[26:27]
	v_mov_b32_e32 v51, v35
	v_mul_f32_e32 v12, v32, v28
	v_pk_add_f32 v[14:15], v[14:15], v[50:51]
	v_mov_b32_e32 v13, v30
	v_mul_f32_e32 v28, v33, v29
	v_pk_add_f32 v[12:13], v[14:15], v[12:13]
	v_mov_b32_e32 v29, v31
	v_pk_add_f32 v[40:41], v[12:13], v[28:29]
	v_add_u32_e32 v12, 1, v25
	v_and_b32_e32 v12, 31, v12
	v_lshl_add_u32 v26, v12, 4, v18
	ds_read_b128 v[12:15], v24 offset:1040
	ds_read_b128 v[26:29], v26
	ds_read_b128 v[30:33], v24 offset:1552
	ds_read_b128 v[34:37], v24 offset:528
	v_mov_b32_e32 v48, v42
	s_cmp_eq_u32 s0, 32
	s_waitcnt lgkmcnt(2)
	v_mul_f32_e32 v12, v26, v12
	v_mul_f32_e32 v46, v27, v13
	s_waitcnt lgkmcnt(0)
	v_mov_b32_e32 v49, v34
	v_pk_fma_f32 v[38:39], v[26:27], v[48:49], v[38:39] op_sel_hi:[0,1,1]
	v_mov_b32_e32 v34, v43
	v_pk_mul_f32 v[30:31], v[26:27], v[30:31]
	v_pk_fma_f32 v[26:27], v[26:27], v[34:35], v[38:39] op_sel:[1,0,0]
	v_mov_b32_e32 v34, v44
	v_mov_b32_e32 v35, v36
	v_pk_fma_f32 v[26:27], v[28:29], v[34:35], v[26:27] op_sel_hi:[0,1,1]
	v_mov_b32_e32 v34, v29
	v_mov_b32_e32 v36, v45
	;; [unrolled: 1-line block ×3, first 2 shown]
	v_pk_fma_f32 v[38:39], v[34:35], v[36:37], v[26:27] op_sel_hi:[0,1,1]
	v_mul_f32_e32 v14, v28, v14
	v_mul_f32_e32 v26, v29, v15
	v_pk_mul_f32 v[28:29], v[28:29], v[32:33]
	v_pk_add_f32 v[12:13], v[40:41], v[12:13]
	v_mov_b32_e32 v47, v31
	v_pk_add_f32 v[12:13], v[12:13], v[46:47]
	v_mov_b32_e32 v15, v28
	;; [unrolled: 2-line block ×3, first 2 shown]
	v_pk_add_f32 v[40:41], v[12:13], v[26:27]
	v_add_u32_e32 v12, 2, v25
	v_and_b32_e32 v12, 31, v12
	v_lshl_add_u32 v26, v12, 4, v18
	ds_read_b128 v[12:15], v24 offset:1056
	ds_read_b128 v[26:29], v26
	ds_read_b128 v[30:33], v24 offset:1568
	ds_read_b128 v[34:37], v24 offset:544
	v_mov_b32_e32 v44, v4
	s_waitcnt lgkmcnt(2)
	v_mul_f32_e32 v12, v26, v12
	s_waitcnt lgkmcnt(1)
	v_pk_mul_f32 v[30:31], v[26:27], v[30:31]
	s_waitcnt lgkmcnt(0)
	v_mov_b32_e32 v45, v34
	v_pk_fma_f32 v[38:39], v[26:27], v[44:45], v[38:39] op_sel_hi:[0,1,1]
	v_mov_b32_e32 v34, v5
	v_mul_f32_e32 v42, v27, v13
	v_pk_fma_f32 v[4:5], v[26:27], v[34:35], v[38:39] op_sel:[1,0,0]
	v_mov_b32_e32 v26, v6
	v_mov_b32_e32 v27, v36
	;; [unrolled: 1-line block ×3, first 2 shown]
	v_pk_fma_f32 v[4:5], v[28:29], v[26:27], v[4:5] op_sel_hi:[0,1,1]
	v_mov_b32_e32 v6, v29
	v_mov_b32_e32 v36, v7
	v_pk_mul_f32 v[26:27], v[28:29], v[32:33]
	v_pk_add_f32 v[12:13], v[40:41], v[12:13]
	v_mov_b32_e32 v43, v31
	v_pk_fma_f32 v[6:7], v[6:7], v[36:37], v[4:5] op_sel_hi:[0,1,1]
	v_mul_f32_e32 v4, v28, v14
	v_pk_add_f32 v[12:13], v[12:13], v[42:43]
	v_mov_b32_e32 v5, v26
	v_pk_add_f32 v[4:5], v[12:13], v[4:5]
	v_add_u32_e32 v12, 3, v25
	v_mul_f32_e32 v14, v29, v15
	v_mov_b32_e32 v15, v27
	v_and_b32_e32 v12, 31, v12
	v_pk_add_f32 v[4:5], v[4:5], v[14:15]
	v_lshl_add_u32 v25, v12, 4, v18
	ds_read_b128 v[12:15], v24 offset:1072
	ds_read_b128 v[26:29], v25
	ds_read_b128 v[30:33], v24 offset:1584
	ds_read_b128 v[34:37], v24 offset:560
	v_add_u32_e32 v24, 64, v24
	s_waitcnt lgkmcnt(2)
	v_mul_f32_e32 v38, v26, v12
	v_mul_f32_e32 v40, v27, v13
	v_mov_b32_e32 v12, v0
	s_waitcnt lgkmcnt(0)
	v_mov_b32_e32 v13, v34
	v_pk_mul_f32 v[30:31], v[26:27], v[30:31]
	v_pk_fma_f32 v[6:7], v[26:27], v[12:13], v[6:7] op_sel_hi:[0,1,1]
	v_mov_b32_e32 v34, v1
	v_pk_fma_f32 v[0:1], v[26:27], v[34:35], v[6:7] op_sel:[1,0,0]
	v_mov_b32_e32 v6, v2
	v_mov_b32_e32 v7, v36
	;; [unrolled: 1-line block ×3, first 2 shown]
	v_pk_fma_f32 v[0:1], v[28:29], v[6:7], v[0:1] op_sel_hi:[0,1,1]
	v_mov_b32_e32 v2, v29
	v_mov_b32_e32 v36, v3
	v_pk_mul_f32 v[6:7], v[28:29], v[32:33]
	v_pk_add_f32 v[4:5], v[4:5], v[38:39]
	v_mov_b32_e32 v41, v31
	v_pk_fma_f32 v[12:13], v[2:3], v[36:37], v[0:1] op_sel_hi:[0,1,1]
	v_mul_f32_e32 v0, v28, v14
	v_pk_add_f32 v[4:5], v[4:5], v[40:41]
	v_mov_b32_e32 v1, v6
	v_mul_f32_e32 v2, v29, v15
	v_pk_add_f32 v[0:1], v[4:5], v[0:1]
	v_mov_b32_e32 v3, v7
	v_pk_add_f32 v[14:15], v[0:1], v[2:3]
	s_cbranch_scc0 .LBB6_10
; %bb.11:                               ;   in Loop: Header=BB6_9 Depth=1
	v_cmp_gt_f32_e64 s[0:1], v12, v9
	v_add_u32_e32 v0, s3, v19
	v_or_b32_e32 v3, 1, v0
	v_cndmask_b32_e64 v2, v9, v12, s[0:1]
	v_cndmask_b32_e64 v1, v23, v0, s[0:1]
	v_cmp_gt_f32_e64 s[0:1], v13, v2
	v_lshl_add_u64 v[10:11], v[10:11], 0, s[10:11]
	s_nop 0
	v_cndmask_b32_e64 v2, v2, v13, s[0:1]
	v_cndmask_b32_e64 v1, v1, v3, s[0:1]
	v_cmp_gt_f32_e64 s[0:1], v14, v2
	v_or_b32_e32 v3, 2, v0
	v_or_b32_e32 v0, 3, v0
	v_cndmask_b32_e64 v2, v2, v14, s[0:1]
	v_cndmask_b32_e64 v1, v1, v3, s[0:1]
	v_cmp_gt_f32_e64 s[0:1], v15, v2
	s_barrier
	s_nop 0
	v_cndmask_b32_e64 v23, v1, v0, s[0:1]
	v_cndmask_b32_e64 v9, v2, v15, s[0:1]
	s_add_i32 s0, s3, 32
	s_cmpk_gt_u32 s3, 0x3fdf
	s_cbranch_scc1 .LBB6_13
; %bb.12:                               ;   in Loop: Header=BB6_9 Depth=1
	s_mov_b32 s3, s0
	s_and_saveexec_b64 s[12:13], vcc
	s_cbranch_execnz .LBB6_7
	s_branch .LBB6_9
.LBB6_13:
	v_lshlrev_b32_e32 v0, 2, v8
	v_cmp_eq_u32_e32 vcc, 0, v17
	ds_write2st64_b32 v0, v9, v23 offset1:4
	s_waitcnt lgkmcnt(0)
	s_barrier
	s_and_saveexec_b64 s[0:1], vcc
	s_cbranch_execz .LBB6_15
; %bb.14:
	v_lshlrev_b32_e32 v4, 2, v16
	ds_read2_b32 v[0:1], v4 offset1:32
	ds_read2_b32 v[2:3], v4 offset0:64 offset1:96
	v_add_u32_e32 v5, 32, v16
	v_add_u32_e32 v6, 64, v16
	s_waitcnt lgkmcnt(1)
	v_cmp_gt_f32_e32 vcc, v1, v0
	s_nop 1
	v_cndmask_b32_e32 v0, v0, v1, vcc
	v_cndmask_b32_e32 v5, v16, v5, vcc
	s_waitcnt lgkmcnt(0)
	v_cmp_gt_f32_e32 vcc, v2, v0
	s_nop 1
	v_cndmask_b32_e32 v2, v0, v2, vcc
	ds_read2_b32 v[0:1], v4 offset0:128 offset1:160
	v_cndmask_b32_e32 v5, v5, v6, vcc
	v_cmp_gt_f32_e32 vcc, v3, v2
	v_add_u32_e32 v6, 0x60, v16
	s_nop 0
	v_cndmask_b32_e32 v2, v2, v3, vcc
	v_cndmask_b32_e32 v5, v5, v6, vcc
	v_add_u32_e32 v3, 0x80, v16
	s_waitcnt lgkmcnt(0)
	v_cmp_gt_f32_e32 vcc, v0, v2
	v_add_u32_e32 v6, 0xa0, v16
	s_nop 0
	v_cndmask_b32_e32 v5, v5, v3, vcc
	v_cndmask_b32_e32 v0, v2, v0, vcc
	ds_read2_b32 v[2:3], v4 offset0:192 offset1:224
	v_cmp_gt_f32_e32 vcc, v1, v0
	s_nop 1
	v_cndmask_b32_e32 v0, v0, v1, vcc
	v_cndmask_b32_e32 v4, v5, v6, vcc
	s_waitcnt lgkmcnt(0)
	v_cmp_gt_f32_e32 vcc, v2, v0
	v_add_u32_e32 v1, 0xc0, v16
	s_nop 0
	v_cndmask_b32_e32 v0, v0, v2, vcc
	v_cndmask_b32_e32 v1, v4, v1, vcc
	v_add_u32_e32 v2, 0xe0, v16
	v_cmp_gt_f32_e32 vcc, v3, v0
	s_nop 1
	v_cndmask_b32_e32 v1, v1, v2, vcc
	v_cndmask_b32_e32 v4, v0, v3, vcc
	v_lshlrev_b32_e32 v0, 2, v1
	ds_read_b32 v5, v0 offset:1024
	v_lshl_add_u32 v0, s2, 5, v16
	v_ashrrev_i32_e32 v1, 31, v0
	v_lshlrev_b64 v[0:1], 2, v[0:1]
	v_lshl_add_u64 v[2:3], s[4:5], 0, v[0:1]
	v_lshl_add_u64 v[0:1], s[6:7], 0, v[0:1]
	global_store_dword v[2:3], v4, off
	s_waitcnt lgkmcnt(0)
	global_store_dword v[0:1], v5, off
.LBB6_15:
	s_endpgm
	.section	.rodata,"a",@progbits
	.p2align	6, 0x0
	.amdhsa_kernel _Z6Match7PKfS0_PfPi
		.amdhsa_group_segment_fixed_size 32768
		.amdhsa_private_segment_fixed_size 0
		.amdhsa_kernarg_size 32
		.amdhsa_user_sgpr_count 2
		.amdhsa_user_sgpr_dispatch_ptr 0
		.amdhsa_user_sgpr_queue_ptr 0
		.amdhsa_user_sgpr_kernarg_segment_ptr 1
		.amdhsa_user_sgpr_dispatch_id 0
		.amdhsa_user_sgpr_kernarg_preload_length 0
		.amdhsa_user_sgpr_kernarg_preload_offset 0
		.amdhsa_user_sgpr_private_segment_size 0
		.amdhsa_uses_dynamic_stack 0
		.amdhsa_enable_private_segment 0
		.amdhsa_system_sgpr_workgroup_id_x 1
		.amdhsa_system_sgpr_workgroup_id_y 0
		.amdhsa_system_sgpr_workgroup_id_z 0
		.amdhsa_system_sgpr_workgroup_info 0
		.amdhsa_system_vgpr_workitem_id 1
		.amdhsa_next_free_vgpr 54
		.amdhsa_next_free_sgpr 16
		.amdhsa_accum_offset 56
		.amdhsa_reserve_vcc 1
		.amdhsa_float_round_mode_32 0
		.amdhsa_float_round_mode_16_64 0
		.amdhsa_float_denorm_mode_32 3
		.amdhsa_float_denorm_mode_16_64 3
		.amdhsa_dx10_clamp 1
		.amdhsa_ieee_mode 1
		.amdhsa_fp16_overflow 0
		.amdhsa_tg_split 0
		.amdhsa_exception_fp_ieee_invalid_op 0
		.amdhsa_exception_fp_denorm_src 0
		.amdhsa_exception_fp_ieee_div_zero 0
		.amdhsa_exception_fp_ieee_overflow 0
		.amdhsa_exception_fp_ieee_underflow 0
		.amdhsa_exception_fp_ieee_inexact 0
		.amdhsa_exception_int_div_zero 0
	.end_amdhsa_kernel
	.text
.Lfunc_end6:
	.size	_Z6Match7PKfS0_PfPi, .Lfunc_end6-_Z6Match7PKfS0_PfPi
                                        ; -- End function
	.set _Z6Match7PKfS0_PfPi.num_vgpr, 54
	.set _Z6Match7PKfS0_PfPi.num_agpr, 0
	.set _Z6Match7PKfS0_PfPi.numbered_sgpr, 16
	.set _Z6Match7PKfS0_PfPi.num_named_barrier, 0
	.set _Z6Match7PKfS0_PfPi.private_seg_size, 0
	.set _Z6Match7PKfS0_PfPi.uses_vcc, 1
	.set _Z6Match7PKfS0_PfPi.uses_flat_scratch, 0
	.set _Z6Match7PKfS0_PfPi.has_dyn_sized_stack, 0
	.set _Z6Match7PKfS0_PfPi.has_recursion, 0
	.set _Z6Match7PKfS0_PfPi.has_indirect_call, 0
	.section	.AMDGPU.csdata,"",@progbits
; Kernel info:
; codeLenInByte = 1756
; TotalNumSgprs: 22
; NumVgprs: 54
; NumAgprs: 0
; TotalNumVgprs: 54
; ScratchSize: 0
; MemoryBound: 0
; FloatMode: 240
; IeeeMode: 1
; LDSByteSize: 32768 bytes/workgroup (compile time only)
; SGPRBlocks: 2
; VGPRBlocks: 6
; NumSGPRsForWavesPerEU: 22
; NumVGPRsForWavesPerEU: 54
; AccumOffset: 56
; Occupancy: 8
; WaveLimiterHint : 0
; COMPUTE_PGM_RSRC2:SCRATCH_EN: 0
; COMPUTE_PGM_RSRC2:USER_SGPR: 2
; COMPUTE_PGM_RSRC2:TRAP_HANDLER: 0
; COMPUTE_PGM_RSRC2:TGID_X_EN: 1
; COMPUTE_PGM_RSRC2:TGID_Y_EN: 0
; COMPUTE_PGM_RSRC2:TGID_Z_EN: 0
; COMPUTE_PGM_RSRC2:TIDIG_COMP_CNT: 1
; COMPUTE_PGM_RSRC3_GFX90A:ACCUM_OFFSET: 13
; COMPUTE_PGM_RSRC3_GFX90A:TG_SPLIT: 0
	.text
	.protected	_Z6Match8PKfS0_PfPi     ; -- Begin function _Z6Match8PKfS0_PfPi
	.globl	_Z6Match8PKfS0_PfPi
	.p2align	8
	.type	_Z6Match8PKfS0_PfPi,@function
_Z6Match8PKfS0_PfPi:                    ; @_Z6Match8PKfS0_PfPi
; %bb.0:
	s_movk_i32 s3, 0x3ff
	v_lshrrev_b32_e32 v1, 10, v0
	v_bfe_u32 v14, v0, 10, 10
	v_bitop3_b32 v1, v0, v1, s3 bitop3:0xa8
	v_cmp_gt_u32_e32 vcc, 32, v1
	v_cmp_lt_u32_e64 s[4:5], 31, v1
	v_lshlrev_b32_e32 v2, 5, v14
	v_lshlrev_b32_e32 v1, 9, v14
	s_and_saveexec_b64 s[6:7], s[4:5]
	s_xor_b64 s[4:5], exec, s[6:7]
; %bb.1:
	v_lshlrev_b32_e32 v2, 5, v14
	v_lshlrev_b32_e32 v1, 9, v14
; %bb.2:
	s_or_saveexec_b64 s[8:9], s[4:5]
	s_load_dwordx2 s[6:7], s[0:1], 0x8
	v_and_b32_e32 v4, 0x3ff, v0
	s_xor_b64 exec, exec, s[8:9]
	s_cbranch_execz .LBB7_6
; %bb.3:
	s_load_dwordx2 s[10:11], s[0:1], 0x0
	v_add_u32_e32 v0, v14, v4
	v_lshl_add_u32 v3, s2, 10, v2
	s_mov_b64 s[12:13], 0
	v_mov_b32_e32 v5, v1
	v_mov_b32_e32 v6, v14
.LBB7_4:                                ; =>This Inner Loop Header: Depth=1
	v_add_u32_e32 v8, v4, v3
	v_ashrrev_i32_e32 v9, 31, v8
	s_waitcnt lgkmcnt(0)
	v_lshl_add_u64 v[8:9], v[8:9], 4, s[10:11]
	global_load_dwordx4 v[8:11], v[8:9], off
	v_and_b32_e32 v7, 31, v0
	v_add_u32_e32 v12, 8, v6
	v_cmp_lt_u32_e64 s[4:5], 23, v6
	v_add_u16_e32 v0, 8, v0
	v_add_u32_e32 v3, 0x100, v3
	v_lshl_add_u32 v7, v7, 4, v5
	v_add_u32_e32 v5, 0x1000, v5
	s_or_b64 s[12:13], s[4:5], s[12:13]
	v_mov_b32_e32 v6, v12
	s_waitcnt vmcnt(0)
	ds_write_b128 v7, v[8:11]
	s_andn2_b64 exec, exec, s[12:13]
	s_cbranch_execnz .LBB7_4
; %bb.5:
	s_or_b64 exec, exec, s[12:13]
.LBB7_6:
	s_or_b64 exec, exec, s[8:9]
	s_load_dwordx4 s[8:11], s[0:1], 0x10
	v_add_u32_e32 v0, v2, v4
	v_lshlrev_b32_e32 v2, 4, v4
	s_movk_i32 s3, 0x4000
	s_movk_i32 s0, 0x80
	v_add3_u32 v20, v1, v2, s3
	v_mov_b32_e32 v1, 0
	v_lshrrev_b32_e32 v16, 4, v0
	v_cmp_gt_u32_e64 s[0:1], s0, v0
	s_waitcnt lgkmcnt(0)
	v_lshl_add_u64 v[2:3], v[0:1], 4, s[6:7]
	v_mov_b32_e32 v0, 0x4000
	v_and_b32_e32 v15, 15, v4
	v_lshl_add_u32 v21, v16, 11, v0
	v_mov_b32_e32 v0, -1
	v_lshlrev_b32_e32 v17, 2, v16
	v_lshlrev_b32_e32 v18, 9, v15
	v_add_u32_e32 v19, -8, v14
	v_mov_b32_e32 v5, v0
	s_mov_b32 s3, 0
	s_mov_b64 s[6:7], 0x1000
	s_mov_b64 s[12:13], 0x4000
	v_mov_b32_e32 v22, v1
	s_and_saveexec_b64 s[14:15], vcc
	s_cbranch_execz .LBB7_9
.LBB7_7:
	s_mov_b64 s[16:17], 0
	v_mov_b64_e32 v[6:7], v[2:3]
	v_mov_b32_e32 v8, v20
	v_mov_b32_e32 v9, v19
.LBB7_8:                                ; =>This Inner Loop Header: Depth=1
	global_load_dwordx4 v[10:13], v[6:7], off
	v_add_u32_e32 v9, 8, v9
	v_cmp_lt_u32_e64 s[4:5], 23, v9
	v_lshl_add_u64 v[6:7], v[6:7], 0, s[6:7]
	s_or_b64 s[16:17], s[4:5], s[16:17]
	s_waitcnt vmcnt(0)
	ds_write_b128 v8, v[10:13]
	v_add_u32_e32 v8, 0x1000, v8
	s_andn2_b64 exec, exec, s[16:17]
	s_cbranch_execnz .LBB7_8
.LBB7_9:                                ; =>This Loop Header: Depth=1
                                        ;     Child Loop BB7_11 Depth 2
	s_or_b64 exec, exec, s[14:15]
	s_waitcnt lgkmcnt(0)
	s_barrier
	s_and_saveexec_b64 s[14:15], s[0:1]
	s_cbranch_execz .LBB7_13
; %bb.10:                               ;   in Loop: Header=BB7_9 Depth=1
	v_mov_b32_e32 v12, 0
	s_mov_b32 s4, 0
	v_mov_b32_e32 v23, v15
	v_mov_b32_e32 v13, v12
	;; [unrolled: 1-line block ×8, first 2 shown]
.LBB7_11:                               ;   Parent Loop BB7_9 Depth=1
                                        ; =>  This Inner Loop Header: Depth=2
	v_and_b32_e32 v24, 31, v23
	v_lshl_add_u32 v32, v24, 4, v18
	v_bitop3_b32 v24, v23, 16, 31 bitop3:0x6c
	v_lshl_add_u32 v36, v24, 4, v18
	v_add_u32_e32 v46, s4, v21
	ds_read_b128 v[24:27], v46
	ds_read_b128 v[28:31], v46 offset:16
	ds_read_b128 v[32:35], v32
	ds_read_b128 v[36:39], v36 offset:8192
	s_add_i32 s4, s4, 32
	s_cmpk_eq_i32 s4, 0x200
	s_waitcnt lgkmcnt(1)
	v_mov_b32_e32 v40, v32
	s_waitcnt lgkmcnt(0)
	v_mov_b32_e32 v41, v36
	v_pk_fma_f32 v[12:13], v[24:25], v[40:41], v[12:13] op_sel_hi:[0,1,1]
	v_mov_b32_e32 v36, v33
	v_pk_fma_f32 v[12:13], v[24:25], v[36:37], v[12:13] op_sel:[1,0,0]
	v_mov_b32_e32 v32, v34
	v_mov_b32_e32 v33, v38
	v_pk_fma_f32 v[12:13], v[26:27], v[32:33], v[12:13] op_sel_hi:[0,1,1]
	v_mov_b32_e32 v24, v27
	v_mov_b32_e32 v38, v35
	v_pk_fma_f32 v[34:35], v[24:25], v[38:39], v[12:13] op_sel_hi:[0,1,1]
	ds_read_b128 v[24:27], v46 offset:512
	s_waitcnt lgkmcnt(0)
	v_pk_fma_f32 v[10:11], v[24:25], v[40:41], v[10:11] op_sel_hi:[0,1,1]
	v_pk_fma_f32 v[10:11], v[24:25], v[36:37], v[10:11] op_sel:[1,0,0]
	v_mov_b32_e32 v12, v27
	v_pk_fma_f32 v[10:11], v[26:27], v[32:33], v[10:11] op_sel_hi:[0,1,1]
	v_pk_fma_f32 v[42:43], v[12:13], v[38:39], v[10:11] op_sel_hi:[0,1,1]
	ds_read_b128 v[10:13], v46 offset:1024
	s_waitcnt lgkmcnt(0)
	v_pk_fma_f32 v[8:9], v[10:11], v[40:41], v[8:9] op_sel_hi:[0,1,1]
	v_pk_fma_f32 v[8:9], v[10:11], v[36:37], v[8:9] op_sel:[1,0,0]
	v_mov_b32_e32 v10, v13
	v_pk_fma_f32 v[8:9], v[12:13], v[32:33], v[8:9] op_sel_hi:[0,1,1]
	;; [unrolled: 7-line block ×3, first 2 shown]
	v_pk_fma_f32 v[32:33], v[8:9], v[38:39], v[6:7] op_sel_hi:[0,1,1]
	v_add_u32_e32 v6, 1, v23
	v_and_b32_e32 v7, 31, v6
	v_lshl_add_u32 v7, v7, 4, v18
	v_bitop3_b32 v6, v6, 16, 31 bitop3:0x6c
	v_lshl_add_u32 v10, v6, 4, v18
	ds_read_b128 v[6:9], v7
	ds_read_b128 v[24:27], v10 offset:8192
	v_add_u32_e32 v23, 2, v23
	s_waitcnt lgkmcnt(1)
	v_mov_b32_e32 v36, v6
	s_waitcnt lgkmcnt(0)
	v_mov_b32_e32 v37, v24
	v_pk_fma_f32 v[10:11], v[28:29], v[36:37], v[34:35] op_sel_hi:[0,1,1]
	v_mov_b32_e32 v24, v7
	v_pk_fma_f32 v[6:7], v[28:29], v[24:25], v[10:11] op_sel:[1,0,0]
	v_mov_b32_e32 v34, v8
	v_mov_b32_e32 v35, v26
	v_pk_fma_f32 v[6:7], v[30:31], v[34:35], v[6:7] op_sel_hi:[0,1,1]
	v_mov_b32_e32 v8, v31
	v_mov_b32_e32 v26, v9
	v_pk_fma_f32 v[12:13], v[8:9], v[26:27], v[6:7] op_sel_hi:[0,1,1]
	ds_read_b128 v[6:9], v46 offset:528
	s_waitcnt lgkmcnt(0)
	v_pk_fma_f32 v[10:11], v[6:7], v[36:37], v[42:43] op_sel_hi:[0,1,1]
	v_pk_fma_f32 v[6:7], v[6:7], v[24:25], v[10:11] op_sel:[1,0,0]
	s_nop 0
	v_pk_fma_f32 v[6:7], v[8:9], v[34:35], v[6:7] op_sel_hi:[0,1,1]
	v_mov_b32_e32 v8, v9
	v_pk_fma_f32 v[10:11], v[8:9], v[26:27], v[6:7] op_sel_hi:[0,1,1]
	ds_read_b128 v[6:9], v46 offset:1040
	s_waitcnt lgkmcnt(0)
	v_pk_fma_f32 v[28:29], v[6:7], v[36:37], v[44:45] op_sel_hi:[0,1,1]
	v_pk_fma_f32 v[6:7], v[6:7], v[24:25], v[28:29] op_sel:[1,0,0]
	ds_read_b128 v[28:31], v46 offset:1552
	v_pk_fma_f32 v[6:7], v[8:9], v[34:35], v[6:7] op_sel_hi:[0,1,1]
	v_mov_b32_e32 v8, v9
	v_pk_fma_f32 v[8:9], v[8:9], v[26:27], v[6:7] op_sel_hi:[0,1,1]
	s_waitcnt lgkmcnt(0)
	v_pk_fma_f32 v[6:7], v[28:29], v[36:37], v[32:33] op_sel_hi:[0,1,1]
	v_pk_fma_f32 v[6:7], v[28:29], v[24:25], v[6:7] op_sel:[1,0,0]
	v_mov_b32_e32 v24, v31
	v_pk_fma_f32 v[6:7], v[30:31], v[34:35], v[6:7] op_sel_hi:[0,1,1]
	v_pk_fma_f32 v[6:7], v[24:25], v[26:27], v[6:7] op_sel_hi:[0,1,1]
	s_cbranch_scc0 .LBB7_11
; %bb.12:                               ;   in Loop: Header=BB7_9 Depth=1
	v_or_b32_e32 v23, s3, v17
	v_cmp_gt_f32_e64 s[4:5], v12, v1
	s_nop 1
	v_cndmask_b32_e64 v0, v0, v23, s[4:5]
	v_cndmask_b32_e64 v1, v1, v12, s[4:5]
	v_cmp_gt_f32_e64 s[4:5], v13, v22
	s_nop 1
	v_cndmask_b32_e64 v5, v5, v23, s[4:5]
	v_cndmask_b32_e64 v12, v22, v13, s[4:5]
	v_or_b32_e32 v13, 1, v23
	v_cmp_gt_f32_e64 s[4:5], v10, v1
	s_nop 1
	v_cndmask_b32_e64 v0, v0, v13, s[4:5]
	v_cndmask_b32_e64 v1, v1, v10, s[4:5]
	v_cmp_gt_f32_e64 s[4:5], v11, v12
	s_nop 1
	v_cndmask_b32_e64 v5, v5, v13, s[4:5]
	v_cndmask_b32_e64 v10, v12, v11, s[4:5]
	;; [unrolled: 9-line block ×4, first 2 shown]
.LBB7_13:                               ;   in Loop: Header=BB7_9 Depth=1
	s_or_b64 exec, exec, s[14:15]
	s_add_i32 s4, s3, 32
	s_cmpk_gt_u32 s3, 0x3fdf
	v_lshl_add_u64 v[2:3], v[2:3], 0, s[12:13]
	s_barrier
	s_cbranch_scc1 .LBB7_15
; %bb.14:                               ;   in Loop: Header=BB7_9 Depth=1
	s_mov_b32 s3, s4
	s_and_saveexec_b64 s[14:15], vcc
	s_cbranch_execnz .LBB7_7
	s_branch .LBB7_9
.LBB7_15:
	s_and_saveexec_b64 s[4:5], s[0:1]
	s_cbranch_execz .LBB7_17
; %bb.16:
	v_lshlrev_b32_e32 v2, 2, v15
	v_lshl_or_b32 v2, v16, 7, v2
	ds_write2_b32 v2, v1, v22 offset1:16
	v_add_u32_e32 v1, 0x400, v2
	ds_write2_b32 v1, v0, v5 offset1:16
.LBB7_17:
	s_or_b64 exec, exec, s[4:5]
	v_cmp_eq_u32_e32 vcc, 0, v14
	s_waitcnt lgkmcnt(0)
	s_barrier
	s_and_saveexec_b64 s[0:1], vcc
	s_cbranch_execz .LBB7_19
; %bb.18:
	v_lshlrev_b32_e32 v5, 2, v4
	ds_read2_b32 v[0:1], v5 offset1:32
	ds_read2_b32 v[2:3], v5 offset0:64 offset1:96
	v_add_u32_e32 v6, 32, v4
	v_add_u32_e32 v7, 64, v4
	s_waitcnt lgkmcnt(1)
	v_cmp_gt_f32_e32 vcc, v1, v0
	s_nop 1
	v_cndmask_b32_e32 v0, v0, v1, vcc
	v_cndmask_b32_e32 v1, v4, v6, vcc
	s_waitcnt lgkmcnt(0)
	v_cmp_gt_f32_e32 vcc, v2, v0
	s_nop 1
	v_cndmask_b32_e32 v2, v0, v2, vcc
	v_cndmask_b32_e32 v6, v1, v7, vcc
	ds_read2_b32 v[0:1], v5 offset0:128 offset1:160
	v_cmp_gt_f32_e32 vcc, v3, v2
	v_add_u32_e32 v7, 0x60, v4
	s_nop 0
	v_cndmask_b32_e32 v2, v2, v3, vcc
	v_cndmask_b32_e32 v3, v6, v7, vcc
	v_add_u32_e32 v6, 0x80, v4
	s_waitcnt lgkmcnt(0)
	v_cmp_gt_f32_e32 vcc, v0, v2
	v_add_u32_e32 v7, 0xa0, v4
	s_nop 0
	v_cndmask_b32_e32 v0, v2, v0, vcc
	v_cndmask_b32_e32 v6, v3, v6, vcc
	ds_read2_b32 v[2:3], v5 offset0:192 offset1:224
	v_cmp_gt_f32_e32 vcc, v1, v0
	v_add_u32_e32 v5, 0xc0, v4
	s_nop 0
	v_cndmask_b32_e32 v0, v0, v1, vcc
	v_cndmask_b32_e32 v1, v6, v7, vcc
	s_waitcnt lgkmcnt(0)
	v_cmp_gt_f32_e32 vcc, v2, v0
	s_nop 1
	v_cndmask_b32_e32 v0, v0, v2, vcc
	v_cndmask_b32_e32 v1, v1, v5, vcc
	v_add_u32_e32 v2, 0xe0, v4
	v_cmp_gt_f32_e32 vcc, v3, v0
	s_nop 1
	v_cndmask_b32_e32 v5, v0, v3, vcc
	v_cndmask_b32_e32 v0, v1, v2, vcc
	v_lshlrev_b32_e32 v0, 2, v0
	ds_read_b32 v6, v0 offset:1024
	v_lshl_add_u32 v0, s2, 5, v4
	v_ashrrev_i32_e32 v1, 31, v0
	v_lshlrev_b64 v[0:1], 2, v[0:1]
	v_lshl_add_u64 v[2:3], s[8:9], 0, v[0:1]
	v_lshl_add_u64 v[0:1], s[10:11], 0, v[0:1]
	global_store_dword v[2:3], v5, off
	s_waitcnt lgkmcnt(0)
	global_store_dword v[0:1], v6, off
.LBB7_19:
	s_endpgm
	.section	.rodata,"a",@progbits
	.p2align	6, 0x0
	.amdhsa_kernel _Z6Match8PKfS0_PfPi
		.amdhsa_group_segment_fixed_size 32768
		.amdhsa_private_segment_fixed_size 0
		.amdhsa_kernarg_size 32
		.amdhsa_user_sgpr_count 2
		.amdhsa_user_sgpr_dispatch_ptr 0
		.amdhsa_user_sgpr_queue_ptr 0
		.amdhsa_user_sgpr_kernarg_segment_ptr 1
		.amdhsa_user_sgpr_dispatch_id 0
		.amdhsa_user_sgpr_kernarg_preload_length 0
		.amdhsa_user_sgpr_kernarg_preload_offset 0
		.amdhsa_user_sgpr_private_segment_size 0
		.amdhsa_uses_dynamic_stack 0
		.amdhsa_enable_private_segment 0
		.amdhsa_system_sgpr_workgroup_id_x 1
		.amdhsa_system_sgpr_workgroup_id_y 0
		.amdhsa_system_sgpr_workgroup_id_z 0
		.amdhsa_system_sgpr_workgroup_info 0
		.amdhsa_system_vgpr_workitem_id 1
		.amdhsa_next_free_vgpr 47
		.amdhsa_next_free_sgpr 18
		.amdhsa_accum_offset 48
		.amdhsa_reserve_vcc 1
		.amdhsa_float_round_mode_32 0
		.amdhsa_float_round_mode_16_64 0
		.amdhsa_float_denorm_mode_32 3
		.amdhsa_float_denorm_mode_16_64 3
		.amdhsa_dx10_clamp 1
		.amdhsa_ieee_mode 1
		.amdhsa_fp16_overflow 0
		.amdhsa_tg_split 0
		.amdhsa_exception_fp_ieee_invalid_op 0
		.amdhsa_exception_fp_denorm_src 0
		.amdhsa_exception_fp_ieee_div_zero 0
		.amdhsa_exception_fp_ieee_overflow 0
		.amdhsa_exception_fp_ieee_underflow 0
		.amdhsa_exception_fp_ieee_inexact 0
		.amdhsa_exception_int_div_zero 0
	.end_amdhsa_kernel
	.text
.Lfunc_end7:
	.size	_Z6Match8PKfS0_PfPi, .Lfunc_end7-_Z6Match8PKfS0_PfPi
                                        ; -- End function
	.set _Z6Match8PKfS0_PfPi.num_vgpr, 47
	.set _Z6Match8PKfS0_PfPi.num_agpr, 0
	.set _Z6Match8PKfS0_PfPi.numbered_sgpr, 18
	.set _Z6Match8PKfS0_PfPi.num_named_barrier, 0
	.set _Z6Match8PKfS0_PfPi.private_seg_size, 0
	.set _Z6Match8PKfS0_PfPi.uses_vcc, 1
	.set _Z6Match8PKfS0_PfPi.uses_flat_scratch, 0
	.set _Z6Match8PKfS0_PfPi.has_dyn_sized_stack, 0
	.set _Z6Match8PKfS0_PfPi.has_recursion, 0
	.set _Z6Match8PKfS0_PfPi.has_indirect_call, 0
	.section	.AMDGPU.csdata,"",@progbits
; Kernel info:
; codeLenInByte = 1688
; TotalNumSgprs: 24
; NumVgprs: 47
; NumAgprs: 0
; TotalNumVgprs: 47
; ScratchSize: 0
; MemoryBound: 0
; FloatMode: 240
; IeeeMode: 1
; LDSByteSize: 32768 bytes/workgroup (compile time only)
; SGPRBlocks: 2
; VGPRBlocks: 5
; NumSGPRsForWavesPerEU: 24
; NumVGPRsForWavesPerEU: 47
; AccumOffset: 48
; Occupancy: 8
; WaveLimiterHint : 0
; COMPUTE_PGM_RSRC2:SCRATCH_EN: 0
; COMPUTE_PGM_RSRC2:USER_SGPR: 2
; COMPUTE_PGM_RSRC2:TRAP_HANDLER: 0
; COMPUTE_PGM_RSRC2:TGID_X_EN: 1
; COMPUTE_PGM_RSRC2:TGID_Y_EN: 0
; COMPUTE_PGM_RSRC2:TGID_Z_EN: 0
; COMPUTE_PGM_RSRC2:TIDIG_COMP_CNT: 1
; COMPUTE_PGM_RSRC3_GFX90A:ACCUM_OFFSET: 11
; COMPUTE_PGM_RSRC3_GFX90A:TG_SPLIT: 0
	.text
	.protected	_Z6Match9PKfS0_PfPi     ; -- Begin function _Z6Match9PKfS0_PfPi
	.globl	_Z6Match9PKfS0_PfPi
	.p2align	8
	.type	_Z6Match9PKfS0_PfPi,@function
_Z6Match9PKfS0_PfPi:                    ; @_Z6Match9PKfS0_PfPi
; %bb.0:
	s_movk_i32 s3, 0x3ff
	v_lshrrev_b32_e32 v1, 10, v0
	v_bfe_u32 v13, v0, 10, 10
	v_bitop3_b32 v1, v0, v1, s3 bitop3:0xa8
	v_cmp_gt_u32_e32 vcc, 32, v1
	v_cmp_lt_u32_e64 s[4:5], 31, v1
	v_lshlrev_b32_e32 v1, 9, v13
	s_and_saveexec_b64 s[6:7], s[4:5]
	s_xor_b64 s[4:5], exec, s[6:7]
; %bb.1:
	v_lshlrev_b32_e32 v1, 9, v13
; %bb.2:
	s_or_saveexec_b64 s[4:5], s[4:5]
	s_load_dwordx2 s[8:9], s[0:1], 0x8
	s_lshl_b32 s22, s2, 5
	v_and_b32_e32 v12, 0x3ff, v0
	s_xor_b64 exec, exec, s[4:5]
	s_cbranch_execz .LBB8_18
; %bb.3:
	s_load_dwordx2 s[10:11], s[0:1], 0x0
	v_or_b32_e32 v0, s22, v13
	v_lshl_or_b32 v2, v0, 5, v12
	v_ashrrev_i32_e32 v3, 31, v2
	v_add_u32_e32 v0, v13, v12
	s_waitcnt lgkmcnt(0)
	v_lshl_add_u64 v[2:3], v[2:3], 4, s[10:11]
	global_load_dwordx4 v[2:5], v[2:3], off
	v_and_b32_e32 v0, 31, v0
	v_lshl_or_b32 v0, v0, 4, v1
	v_cmp_gt_u32_e64 s[2:3], 28, v13
	s_waitcnt vmcnt(0)
	ds_write_b128 v0, v[2:5]
	s_and_saveexec_b64 s[6:7], s[2:3]
	s_xor_b64 s[6:7], exec, s[6:7]
	s_cbranch_execz .LBB8_17
; %bb.4:
	v_add_u32_e32 v0, 4, v13
	v_add_u32_e32 v2, s22, v0
	v_lshl_or_b32 v2, v2, 5, v12
	v_ashrrev_i32_e32 v3, 31, v2
	v_lshl_add_u64 v[2:3], v[2:3], 4, s[10:11]
	global_load_dwordx4 v[2:5], v[2:3], off
	v_add_u32_e32 v6, v0, v12
	v_and_b32_e32 v6, 31, v6
	v_lshlrev_b32_e32 v6, 4, v6
	v_lshl_or_b32 v0, v0, 9, v6
	v_cmp_gt_u32_e64 s[2:3], 24, v13
	s_waitcnt vmcnt(0)
	ds_write_b128 v0, v[2:5]
	s_and_saveexec_b64 s[12:13], s[2:3]
	s_xor_b64 s[12:13], exec, s[12:13]
	s_cbranch_execz .LBB8_16
; %bb.5:
	v_add_u32_e32 v0, 8, v13
	v_add_u32_e32 v2, s22, v0
	v_lshl_or_b32 v2, v2, 5, v12
	v_ashrrev_i32_e32 v3, 31, v2
	v_lshl_add_u64 v[2:3], v[2:3], 4, s[10:11]
	global_load_dwordx4 v[2:5], v[2:3], off
	v_add_u32_e32 v6, v0, v12
	v_and_b32_e32 v6, 31, v6
	v_lshlrev_b32_e32 v6, 4, v6
	;; [unrolled: 17-line block ×3, first 2 shown]
	v_lshl_or_b32 v0, v0, 9, v6
	v_cmp_gt_u32_e64 s[2:3], 16, v13
	s_waitcnt vmcnt(0)
	ds_write_b128 v0, v[2:5]
	s_and_saveexec_b64 s[16:17], s[2:3]
	s_xor_b64 s[16:17], exec, s[16:17]
	s_cbranch_execz .LBB8_14
; %bb.7:
	v_or_b32_e32 v0, 16, v13
	v_or_b32_e32 v2, s22, v0
	v_lshl_or_b32 v2, v2, 5, v12
	v_ashrrev_i32_e32 v3, 31, v2
	v_lshl_add_u64 v[2:3], v[2:3], 4, s[10:11]
	global_load_dwordx4 v[2:5], v[2:3], off
	v_add_u32_e32 v6, v0, v12
	v_and_b32_e32 v6, 31, v6
	v_lshlrev_b32_e32 v6, 4, v6
	v_lshl_or_b32 v6, v0, 9, v6
	v_cmp_gt_u32_e64 s[2:3], 28, v0
	s_waitcnt vmcnt(0)
	ds_write_b128 v6, v[2:5]
	s_and_saveexec_b64 s[18:19], s[2:3]
	s_xor_b64 s[18:19], exec, s[18:19]
	s_cbranch_execz .LBB8_13
; %bb.8:
	v_add_u32_e32 v0, 20, v13
	v_add_u32_e32 v2, s22, v0
	v_lshl_or_b32 v2, v2, 5, v12
	v_ashrrev_i32_e32 v3, 31, v2
	v_lshl_add_u64 v[2:3], v[2:3], 4, s[10:11]
	global_load_dwordx4 v[2:5], v[2:3], off
	v_add_u32_e32 v6, v0, v12
	v_and_b32_e32 v6, 31, v6
	v_lshlrev_b32_e32 v6, 4, v6
	v_lshl_or_b32 v0, v0, 9, v6
	v_cmp_gt_u32_e64 s[2:3], 8, v13
	s_waitcnt vmcnt(0)
	ds_write_b128 v0, v[2:5]
	s_and_saveexec_b64 s[20:21], s[2:3]
	s_xor_b64 s[20:21], exec, s[20:21]
	s_cbranch_execz .LBB8_12
; %bb.9:
	v_or_b32_e32 v0, 24, v13
	v_or_b32_e32 v2, s22, v0
	v_lshl_or_b32 v2, v2, 5, v12
	v_ashrrev_i32_e32 v3, 31, v2
	v_lshl_add_u64 v[2:3], v[2:3], 4, s[10:11]
	global_load_dwordx4 v[2:5], v[2:3], off
	v_add_u32_e32 v6, v0, v12
	v_and_b32_e32 v6, 31, v6
	v_lshlrev_b32_e32 v6, 4, v6
	v_lshl_or_b32 v6, v0, 9, v6
	v_cmp_gt_u32_e64 s[2:3], 28, v0
	s_waitcnt vmcnt(0)
	ds_write_b128 v6, v[2:5]
	s_and_saveexec_b64 s[24:25], s[2:3]
	s_xor_b64 s[2:3], exec, s[24:25]
	s_cbranch_execz .LBB8_11
; %bb.10:
	v_add_u32_e32 v0, 28, v13
	v_add_u32_e32 v2, s22, v0
	v_lshl_or_b32 v2, v2, 5, v12
	v_ashrrev_i32_e32 v3, 31, v2
	v_lshl_add_u64 v[2:3], v[2:3], 4, s[10:11]
	global_load_dwordx4 v[2:5], v[2:3], off
	v_add_u32_e32 v6, v0, v12
	v_and_b32_e32 v6, 31, v6
	v_lshlrev_b32_e32 v6, 4, v6
	v_lshl_or_b32 v0, v0, 9, v6
	s_waitcnt vmcnt(0)
	ds_write_b128 v0, v[2:5]
.LBB8_11:
	s_or_b64 exec, exec, s[2:3]
.LBB8_12:
	s_or_b64 exec, exec, s[20:21]
.LBB8_13:
	s_or_b64 exec, exec, s[18:19]
.LBB8_14:
	s_or_b64 exec, exec, s[16:17]
.LBB8_15:
	s_or_b64 exec, exec, s[14:15]
.LBB8_16:
	s_or_b64 exec, exec, s[12:13]
.LBB8_17:
	s_or_b64 exec, exec, s[6:7]
.LBB8_18:
	s_or_b64 exec, exec, s[4:5]
	s_load_dwordx4 s[4:7], s[0:1], 0x10
	v_lshl_add_u32 v16, v13, 5, v12
	v_lshlrev_b32_e32 v0, 4, v12
	s_movk_i32 s0, 0x4000
	v_lshlrev_b32_e32 v2, 4, v16
	v_mov_b32_e32 v3, 0
	v_and_b32_e32 v14, 15, v12
	v_lshrrev_b32_e32 v15, 4, v16
	v_add3_u32 v20, v1, v0, s0
	s_waitcnt lgkmcnt(0)
	v_lshl_add_u64 v[0:1], s[8:9], 0, v[2:3]
	v_mov_b32_e32 v2, 0x4000
	v_lshlrev_b32_e32 v17, 2, v15
	v_lshlrev_b32_e32 v18, 9, v14
	v_add_u32_e32 v19, -4, v13
	v_lshl_add_u32 v2, v15, 11, v2
	v_mov_b32_e32 v21, -1
	s_mov_b32 s14, 0
	s_mov_b64 s[2:3], 0x800
	s_mov_b64 s[8:9], 0x4000
	v_mov_b32_e32 v22, v3
	v_mov_b32_e32 v23, -1
	s_and_saveexec_b64 s[10:11], vcc
	s_cbranch_execz .LBB8_21
.LBB8_19:
	s_mov_b64 s[12:13], 0
	v_mov_b64_e32 v[4:5], v[0:1]
	v_mov_b32_e32 v6, v20
	v_mov_b32_e32 v7, v19
.LBB8_20:                               ; =>This Inner Loop Header: Depth=1
	global_load_dwordx4 v[8:11], v[4:5], off
	v_add_u32_e32 v7, 4, v7
	v_cmp_lt_u32_e64 s[0:1], 27, v7
	v_lshl_add_u64 v[4:5], v[4:5], 0, s[2:3]
	s_or_b64 s[12:13], s[0:1], s[12:13]
	s_waitcnt vmcnt(0)
	ds_write_b128 v6, v[8:11]
	v_add_u32_e32 v6, 0x800, v6
	s_andn2_b64 exec, exec, s[12:13]
	s_cbranch_execnz .LBB8_20
.LBB8_21:                               ; =>This Loop Header: Depth=1
                                        ;     Child Loop BB8_22 Depth 2
	s_or_b64 exec, exec, s[10:11]
	v_mov_b32_e32 v10, 0
	s_mov_b32 s0, 0
	v_mov_b32_e32 v24, v14
	v_mov_b32_e32 v11, v10
	;; [unrolled: 1-line block ×8, first 2 shown]
	s_waitcnt lgkmcnt(0)
	s_barrier
.LBB8_22:                               ;   Parent Loop BB8_21 Depth=1
                                        ; =>  This Inner Loop Header: Depth=2
	v_bitop3_b32 v26, v24, 16, 31 bitop3:0x6c
	v_and_b32_e32 v25, 31, v24
	v_lshl_add_u32 v38, v26, 4, v18
	v_add_u32_e32 v48, s0, v2
	v_lshl_add_u32 v25, v25, 4, v18
	ds_read_b128 v[26:29], v48
	ds_read_b128 v[30:33], v48 offset:16
	ds_read_b128 v[34:37], v25
	ds_read_b128 v[38:41], v38 offset:8192
	s_add_i32 s0, s0, 32
	s_cmpk_eq_i32 s0, 0x200
	s_waitcnt lgkmcnt(1)
	v_mov_b32_e32 v42, v34
	s_waitcnt lgkmcnt(0)
	v_mov_b32_e32 v43, v38
	v_pk_fma_f32 v[10:11], v[26:27], v[42:43], v[10:11] op_sel_hi:[0,1,1]
	v_mov_b32_e32 v38, v35
	v_pk_fma_f32 v[10:11], v[26:27], v[38:39], v[10:11] op_sel:[1,0,0]
	v_mov_b32_e32 v34, v36
	v_mov_b32_e32 v35, v40
	v_pk_fma_f32 v[10:11], v[28:29], v[34:35], v[10:11] op_sel_hi:[0,1,1]
	v_mov_b32_e32 v26, v29
	v_mov_b32_e32 v40, v37
	v_pk_fma_f32 v[36:37], v[26:27], v[40:41], v[10:11] op_sel_hi:[0,1,1]
	ds_read_b128 v[26:29], v48 offset:512
	s_waitcnt lgkmcnt(0)
	v_pk_fma_f32 v[8:9], v[26:27], v[42:43], v[8:9] op_sel_hi:[0,1,1]
	v_pk_fma_f32 v[8:9], v[26:27], v[38:39], v[8:9] op_sel:[1,0,0]
	v_mov_b32_e32 v10, v29
	v_pk_fma_f32 v[8:9], v[28:29], v[34:35], v[8:9] op_sel_hi:[0,1,1]
	v_pk_fma_f32 v[44:45], v[10:11], v[40:41], v[8:9] op_sel_hi:[0,1,1]
	ds_read_b128 v[8:11], v48 offset:1024
	s_waitcnt lgkmcnt(0)
	v_pk_fma_f32 v[6:7], v[8:9], v[42:43], v[6:7] op_sel_hi:[0,1,1]
	v_pk_fma_f32 v[6:7], v[8:9], v[38:39], v[6:7] op_sel:[1,0,0]
	v_mov_b32_e32 v8, v11
	v_pk_fma_f32 v[6:7], v[10:11], v[34:35], v[6:7] op_sel_hi:[0,1,1]
	;; [unrolled: 7-line block ×3, first 2 shown]
	v_pk_fma_f32 v[34:35], v[6:7], v[40:41], v[4:5] op_sel_hi:[0,1,1]
	v_add_u32_e32 v4, 1, v24
	v_and_b32_e32 v5, 31, v4
	v_lshl_add_u32 v5, v5, 4, v18
	v_bitop3_b32 v4, v4, 16, 31 bitop3:0x6c
	v_lshl_add_u32 v8, v4, 4, v18
	ds_read_b128 v[4:7], v5
	ds_read_b128 v[26:29], v8 offset:8192
	v_add_u32_e32 v24, 2, v24
	s_waitcnt lgkmcnt(1)
	v_mov_b32_e32 v38, v4
	s_waitcnt lgkmcnt(0)
	v_mov_b32_e32 v39, v26
	v_pk_fma_f32 v[8:9], v[30:31], v[38:39], v[36:37] op_sel_hi:[0,1,1]
	v_mov_b32_e32 v26, v5
	v_pk_fma_f32 v[4:5], v[30:31], v[26:27], v[8:9] op_sel:[1,0,0]
	v_mov_b32_e32 v36, v6
	v_mov_b32_e32 v37, v28
	v_pk_fma_f32 v[4:5], v[32:33], v[36:37], v[4:5] op_sel_hi:[0,1,1]
	v_mov_b32_e32 v6, v33
	v_mov_b32_e32 v28, v7
	v_pk_fma_f32 v[10:11], v[6:7], v[28:29], v[4:5] op_sel_hi:[0,1,1]
	ds_read_b128 v[4:7], v48 offset:528
	s_waitcnt lgkmcnt(0)
	v_pk_fma_f32 v[8:9], v[4:5], v[38:39], v[44:45] op_sel_hi:[0,1,1]
	v_pk_fma_f32 v[4:5], v[4:5], v[26:27], v[8:9] op_sel:[1,0,0]
	s_nop 0
	v_pk_fma_f32 v[4:5], v[6:7], v[36:37], v[4:5] op_sel_hi:[0,1,1]
	v_mov_b32_e32 v6, v7
	v_pk_fma_f32 v[8:9], v[6:7], v[28:29], v[4:5] op_sel_hi:[0,1,1]
	ds_read_b128 v[4:7], v48 offset:1040
	s_waitcnt lgkmcnt(0)
	v_pk_fma_f32 v[30:31], v[4:5], v[38:39], v[46:47] op_sel_hi:[0,1,1]
	v_pk_fma_f32 v[4:5], v[4:5], v[26:27], v[30:31] op_sel:[1,0,0]
	ds_read_b128 v[30:33], v48 offset:1552
	v_pk_fma_f32 v[4:5], v[6:7], v[36:37], v[4:5] op_sel_hi:[0,1,1]
	v_mov_b32_e32 v6, v7
	v_pk_fma_f32 v[6:7], v[6:7], v[28:29], v[4:5] op_sel_hi:[0,1,1]
	s_waitcnt lgkmcnt(0)
	v_pk_fma_f32 v[4:5], v[30:31], v[38:39], v[34:35] op_sel_hi:[0,1,1]
	v_pk_fma_f32 v[4:5], v[30:31], v[26:27], v[4:5] op_sel:[1,0,0]
	v_mov_b32_e32 v26, v33
	v_pk_fma_f32 v[4:5], v[32:33], v[36:37], v[4:5] op_sel_hi:[0,1,1]
	v_pk_fma_f32 v[4:5], v[26:27], v[28:29], v[4:5] op_sel_hi:[0,1,1]
	s_cbranch_scc0 .LBB8_22
; %bb.23:                               ;   in Loop: Header=BB8_21 Depth=1
	v_add_u32_e32 v24, s14, v17
	v_cmp_gt_f32_e64 s[0:1], v10, v3
	v_lshl_add_u64 v[0:1], v[0:1], 0, s[8:9]
	s_nop 0
	v_cndmask_b32_e64 v21, v21, v24, s[0:1]
	v_cndmask_b32_e64 v3, v3, v10, s[0:1]
	v_cmp_gt_f32_e64 s[0:1], v11, v22
	s_barrier
	s_nop 0
	v_cndmask_b32_e64 v10, v23, v24, s[0:1]
	v_cndmask_b32_e64 v11, v22, v11, s[0:1]
	v_or_b32_e32 v22, 1, v24
	v_cmp_gt_f32_e64 s[0:1], v8, v3
	s_nop 1
	v_cndmask_b32_e64 v21, v21, v22, s[0:1]
	v_cndmask_b32_e64 v3, v3, v8, s[0:1]
	v_cmp_gt_f32_e64 s[0:1], v9, v11
	s_nop 1
	v_cndmask_b32_e64 v8, v10, v22, s[0:1]
	v_cndmask_b32_e64 v9, v11, v9, s[0:1]
	v_or_b32_e32 v10, 2, v24
	v_cmp_gt_f32_e64 s[0:1], v6, v3
	s_nop 1
	v_cndmask_b32_e64 v11, v21, v10, s[0:1]
	v_cndmask_b32_e64 v3, v3, v6, s[0:1]
	v_cmp_gt_f32_e64 s[0:1], v7, v9
	;; [unrolled: 9-line block ×3, first 2 shown]
	s_nop 1
	v_cndmask_b32_e64 v23, v6, v8, s[0:1]
	v_cndmask_b32_e64 v22, v7, v5, s[0:1]
	s_add_i32 s0, s14, 32
	s_cmpk_gt_u32 s14, 0x3fdf
	s_cbranch_scc1 .LBB8_25
; %bb.24:                               ;   in Loop: Header=BB8_21 Depth=1
	s_mov_b32 s14, s0
	s_and_saveexec_b64 s[10:11], vcc
	s_cbranch_execnz .LBB8_19
	s_branch .LBB8_21
.LBB8_25:
	s_movk_i32 s0, 0x80
	v_cmp_gt_u32_e32 vcc, s0, v16
	s_and_saveexec_b64 s[0:1], vcc
	s_cbranch_execz .LBB8_27
; %bb.26:
	v_lshlrev_b32_e32 v0, 2, v14
	v_lshl_or_b32 v0, v15, 7, v0
	ds_write2_b32 v0, v3, v22 offset1:16
	v_add_u32_e32 v0, 0x400, v0
	ds_write2_b32 v0, v21, v23 offset1:16
.LBB8_27:
	s_or_b64 exec, exec, s[0:1]
	v_cmp_eq_u32_e32 vcc, 0, v13
	s_waitcnt lgkmcnt(0)
	s_barrier
	s_and_saveexec_b64 s[0:1], vcc
	s_cbranch_execz .LBB8_29
; %bb.28:
	v_lshlrev_b32_e32 v4, 2, v12
	ds_read2_b32 v[0:1], v4 offset1:32
	ds_read2_b32 v[2:3], v4 offset0:64 offset1:96
	v_add_u32_e32 v5, 32, v12
	v_add_u32_e32 v6, 64, v12
	s_waitcnt lgkmcnt(1)
	v_cmp_gt_f32_e32 vcc, v1, v0
	s_nop 1
	v_cndmask_b32_e32 v0, v0, v1, vcc
	v_cndmask_b32_e32 v1, v12, v5, vcc
	s_waitcnt lgkmcnt(0)
	v_cmp_gt_f32_e32 vcc, v2, v0
	s_nop 1
	v_cndmask_b32_e32 v2, v0, v2, vcc
	v_cndmask_b32_e32 v5, v1, v6, vcc
	ds_read2_b32 v[0:1], v4 offset0:128 offset1:160
	v_cmp_gt_f32_e32 vcc, v3, v2
	v_add_u32_e32 v6, 0x60, v12
	s_nop 0
	v_cndmask_b32_e32 v2, v2, v3, vcc
	v_cndmask_b32_e32 v3, v5, v6, vcc
	v_add_u32_e32 v5, 0x80, v12
	s_waitcnt lgkmcnt(0)
	v_cmp_gt_f32_e32 vcc, v0, v2
	v_add_u32_e32 v6, 0xa0, v12
	s_nop 0
	v_cndmask_b32_e32 v0, v2, v0, vcc
	v_cndmask_b32_e32 v5, v3, v5, vcc
	ds_read2_b32 v[2:3], v4 offset0:192 offset1:224
	v_cmp_gt_f32_e32 vcc, v1, v0
	v_add_u32_e32 v4, 0xc0, v12
	s_nop 0
	v_cndmask_b32_e32 v0, v0, v1, vcc
	v_cndmask_b32_e32 v1, v5, v6, vcc
	s_waitcnt lgkmcnt(0)
	v_cmp_gt_f32_e32 vcc, v2, v0
	s_nop 1
	v_cndmask_b32_e32 v0, v0, v2, vcc
	v_cndmask_b32_e32 v1, v1, v4, vcc
	v_add_u32_e32 v2, 0xe0, v12
	v_cmp_gt_f32_e32 vcc, v3, v0
	s_nop 1
	v_cndmask_b32_e32 v4, v0, v3, vcc
	v_cndmask_b32_e32 v0, v1, v2, vcc
	v_lshlrev_b32_e32 v0, 2, v0
	ds_read_b32 v5, v0 offset:1024
	v_add_u32_e32 v0, s22, v12
	v_ashrrev_i32_e32 v1, 31, v0
	v_lshlrev_b64 v[0:1], 2, v[0:1]
	v_lshl_add_u64 v[2:3], s[4:5], 0, v[0:1]
	v_lshl_add_u64 v[0:1], s[6:7], 0, v[0:1]
	global_store_dword v[2:3], v4, off
	s_waitcnt lgkmcnt(0)
	global_store_dword v[0:1], v5, off
.LBB8_29:
	s_endpgm
	.section	.rodata,"a",@progbits
	.p2align	6, 0x0
	.amdhsa_kernel _Z6Match9PKfS0_PfPi
		.amdhsa_group_segment_fixed_size 32768
		.amdhsa_private_segment_fixed_size 0
		.amdhsa_kernarg_size 32
		.amdhsa_user_sgpr_count 2
		.amdhsa_user_sgpr_dispatch_ptr 0
		.amdhsa_user_sgpr_queue_ptr 0
		.amdhsa_user_sgpr_kernarg_segment_ptr 1
		.amdhsa_user_sgpr_dispatch_id 0
		.amdhsa_user_sgpr_kernarg_preload_length 0
		.amdhsa_user_sgpr_kernarg_preload_offset 0
		.amdhsa_user_sgpr_private_segment_size 0
		.amdhsa_uses_dynamic_stack 0
		.amdhsa_enable_private_segment 0
		.amdhsa_system_sgpr_workgroup_id_x 1
		.amdhsa_system_sgpr_workgroup_id_y 0
		.amdhsa_system_sgpr_workgroup_id_z 0
		.amdhsa_system_sgpr_workgroup_info 0
		.amdhsa_system_vgpr_workitem_id 1
		.amdhsa_next_free_vgpr 49
		.amdhsa_next_free_sgpr 26
		.amdhsa_accum_offset 52
		.amdhsa_reserve_vcc 1
		.amdhsa_float_round_mode_32 0
		.amdhsa_float_round_mode_16_64 0
		.amdhsa_float_denorm_mode_32 3
		.amdhsa_float_denorm_mode_16_64 3
		.amdhsa_dx10_clamp 1
		.amdhsa_ieee_mode 1
		.amdhsa_fp16_overflow 0
		.amdhsa_tg_split 0
		.amdhsa_exception_fp_ieee_invalid_op 0
		.amdhsa_exception_fp_denorm_src 0
		.amdhsa_exception_fp_ieee_div_zero 0
		.amdhsa_exception_fp_ieee_overflow 0
		.amdhsa_exception_fp_ieee_underflow 0
		.amdhsa_exception_fp_ieee_inexact 0
		.amdhsa_exception_int_div_zero 0
	.end_amdhsa_kernel
	.text
.Lfunc_end8:
	.size	_Z6Match9PKfS0_PfPi, .Lfunc_end8-_Z6Match9PKfS0_PfPi
                                        ; -- End function
	.set _Z6Match9PKfS0_PfPi.num_vgpr, 49
	.set _Z6Match9PKfS0_PfPi.num_agpr, 0
	.set _Z6Match9PKfS0_PfPi.numbered_sgpr, 26
	.set _Z6Match9PKfS0_PfPi.num_named_barrier, 0
	.set _Z6Match9PKfS0_PfPi.private_seg_size, 0
	.set _Z6Match9PKfS0_PfPi.uses_vcc, 1
	.set _Z6Match9PKfS0_PfPi.uses_flat_scratch, 0
	.set _Z6Match9PKfS0_PfPi.has_dyn_sized_stack, 0
	.set _Z6Match9PKfS0_PfPi.has_recursion, 0
	.set _Z6Match9PKfS0_PfPi.has_indirect_call, 0
	.section	.AMDGPU.csdata,"",@progbits
; Kernel info:
; codeLenInByte = 2252
; TotalNumSgprs: 32
; NumVgprs: 49
; NumAgprs: 0
; TotalNumVgprs: 49
; ScratchSize: 0
; MemoryBound: 0
; FloatMode: 240
; IeeeMode: 1
; LDSByteSize: 32768 bytes/workgroup (compile time only)
; SGPRBlocks: 3
; VGPRBlocks: 6
; NumSGPRsForWavesPerEU: 32
; NumVGPRsForWavesPerEU: 49
; AccumOffset: 52
; Occupancy: 8
; WaveLimiterHint : 0
; COMPUTE_PGM_RSRC2:SCRATCH_EN: 0
; COMPUTE_PGM_RSRC2:USER_SGPR: 2
; COMPUTE_PGM_RSRC2:TRAP_HANDLER: 0
; COMPUTE_PGM_RSRC2:TGID_X_EN: 1
; COMPUTE_PGM_RSRC2:TGID_Y_EN: 0
; COMPUTE_PGM_RSRC2:TGID_Z_EN: 0
; COMPUTE_PGM_RSRC2:TIDIG_COMP_CNT: 1
; COMPUTE_PGM_RSRC3_GFX90A:ACCUM_OFFSET: 12
; COMPUTE_PGM_RSRC3_GFX90A:TG_SPLIT: 0
	.text
	.protected	_Z7Match10PKfS0_PfPi    ; -- Begin function _Z7Match10PKfS0_PfPi
	.globl	_Z7Match10PKfS0_PfPi
	.p2align	8
	.type	_Z7Match10PKfS0_PfPi,@function
_Z7Match10PKfS0_PfPi:                   ; @_Z7Match10PKfS0_PfPi
; %bb.0:
	s_movk_i32 s3, 0x3ff
	v_lshrrev_b32_e32 v1, 10, v0
	v_bfe_u32 v51, v0, 10, 10
	v_bitop3_b32 v1, v0, v1, s3 bitop3:0xa8
	v_cmp_lt_u32_e32 vcc, 31, v1
	v_lshlrev_b32_e32 v1, 5, v51
	s_and_saveexec_b64 s[4:5], vcc
	s_xor_b64 s[4:5], exec, s[4:5]
; %bb.1:
	v_lshlrev_b32_e32 v1, 5, v51
; %bb.2:
	s_or_saveexec_b64 s[4:5], s[4:5]
	s_load_dwordx2 s[8:9], s[0:1], 0x8
	v_and_b32_e32 v50, 0x3ff, v0
	s_xor_b64 exec, exec, s[4:5]
	s_cbranch_execz .LBB9_6
; %bb.3:
	s_load_dwordx2 s[6:7], s[0:1], 0x0
	v_lshlrev_b32_e32 v0, 9, v51
	v_add_u32_e32 v2, v51, v50
	v_lshl_add_u32 v3, s2, 10, v1
	s_mov_b64 s[10:11], 0
	v_mov_b32_e32 v4, v51
.LBB9_4:                                ; =>This Inner Loop Header: Depth=1
	v_add_u32_e32 v6, v50, v3
	v_ashrrev_i32_e32 v7, 31, v6
	s_waitcnt lgkmcnt(0)
	v_lshl_add_u64 v[6:7], v[6:7], 4, s[6:7]
	global_load_dwordx4 v[6:9], v[6:7], off
	v_and_b32_e32 v5, 31, v2
	v_add_u32_e32 v10, 8, v4
	v_cmp_lt_u32_e32 vcc, 23, v4
	v_add_u16_e32 v2, 8, v2
	v_add_u32_e32 v3, 0x100, v3
	v_lshl_add_u32 v5, v5, 4, v0
	v_add_u32_e32 v0, 0x1000, v0
	s_or_b64 s[10:11], vcc, s[10:11]
	v_mov_b32_e32 v4, v10
	s_waitcnt vmcnt(0)
	ds_write_b128 v5, v[6:9]
	s_andn2_b64 exec, exec, s[10:11]
	s_cbranch_execnz .LBB9_4
; %bb.5:
	s_or_b64 exec, exec, s[10:11]
.LBB9_6:
	s_or_b64 exec, exec, s[4:5]
	s_load_dwordx4 s[4:7], s[0:1], 0x10
	v_add_u32_e32 v0, v1, v50
	v_and_b32_e32 v54, 7, v50
	v_lshrrev_b32_e32 v55, 3, v0
	s_mov_b32 s0, 0xfff8
	v_and_or_b32 v1, v0, s0, v54
	v_mov_b32_e32 v2, 0x4000
	s_movk_i32 s0, 0x80
	v_lshl_or_b32 v36, v55, 5, v54
	v_mov_b32_e32 v37, 0
	v_and_b32_e32 v52, 15, v50
	v_lshrrev_b32_e32 v53, 4, v0
	v_lshl_add_u32 v56, v1, 4, v2
	v_cmp_gt_u32_e64 s[0:1], s0, v0
	s_waitcnt lgkmcnt(0)
	v_lshl_add_u64 v[0:1], v[36:37], 4, s[8:9]
	s_mov_b64 s[10:11], 0x80
	v_lshl_add_u32 v57, v53, 9, v2
	v_lshlrev_b32_e32 v58, 2, v53
	v_lshlrev_b32_e32 v59, 9, v52
	v_lshl_add_u64 v[38:39], v[0:1], 0, s[10:11]
	v_mov_b32_e32 v60, -1
	s_mov_b32 s3, 0
	s_mov_b64 s[12:13], 0x4000
                                        ; implicit-def: $vgpr0_vgpr1_vgpr2_vgpr3
	v_mov_b32_e32 v61, 0
	v_mov_b32_e32 v62, 0
	v_mov_b32_e32 v63, -1
.LBB9_7:                                ; =>This Loop Header: Depth=1
                                        ;     Child Loop BB9_9 Depth 2
	v_add_u32_e32 v4, s3, v55
	v_lshl_or_b32 v36, v4, 5, v54
	v_lshl_add_u64 v[4:5], v[36:37], 4, s[8:9]
	global_load_dwordx4 v[4:7], v[4:5], off
	v_mov_b32_e32 v36, v37
	v_mov_b64_e32 v[40:41], v[38:39]
	s_mov_b32 s20, 0
	v_mov_b64_e32 v[14:15], v[36:37]
	v_mov_b64_e32 v[16:17], v[36:37]
	;; [unrolled: 1-line block ×4, first 2 shown]
	s_waitcnt vmcnt(0)
	ds_write_b128 v56, v[4:7]
	s_waitcnt lgkmcnt(0)
	s_barrier
	s_branch .LBB9_9
.LBB9_8:                                ;   in Loop: Header=BB9_9 Depth=2
	s_add_i32 s20, s20, 8
	v_lshl_add_u64 v[40:41], v[40:41], 0, s[10:11]
	s_and_b64 vcc, exec, s[14:15]
	s_cbranch_vccnz .LBB9_15
.LBB9_9:                                ;   Parent Loop BB9_7 Depth=1
                                        ; =>  This Inner Loop Header: Depth=2
	s_cmp_lt_u32 s20, 24
	s_cselect_b64 s[16:17], -1, 0
	s_cmp_gt_u32 s20, 23
	s_cselect_b64 s[14:15], -1, 0
	s_and_b64 vcc, exec, s[14:15]
	s_cbranch_vccnz .LBB9_11
; %bb.10:                               ;   in Loop: Header=BB9_9 Depth=2
	global_load_dwordx4 v[0:3], v[40:41], off
.LBB9_11:                               ;   in Loop: Header=BB9_9 Depth=2
	s_and_saveexec_b64 s[18:19], s[0:1]
	s_cbranch_execz .LBB9_13
; %bb.12:                               ;   in Loop: Header=BB9_9 Depth=2
	v_add_u32_e32 v36, s20, v52
	v_and_b32_e32 v4, 31, v36
	v_lshl_add_u32 v18, v4, 4, v59
	v_bitop3_b32 v4, v36, 16, 31 bitop3:0x6c
	v_lshl_add_u32 v19, v4, 4, v59
	ds_read_b128 v[22:25], v57
	ds_read_b128 v[26:29], v57 offset:16
	ds_read_b128 v[8:11], v57 offset:32
	;; [unrolled: 1-line block ×4, first 2 shown]
	ds_read_b128 v[42:45], v18
	ds_read_b128 v[64:67], v19 offset:8192
	ds_read_b128 v[46:49], v57 offset:128
	;; [unrolled: 1-line block ×4, first 2 shown]
	v_add_u32_e32 v34, 1, v36
	v_and_b32_e32 v34, 31, v34
	v_add_u32_e32 v35, 17, v36
	s_waitcnt lgkmcnt(4)
	v_mov_b32_e32 v18, v42
	s_waitcnt lgkmcnt(3)
	v_mov_b32_e32 v19, v64
	v_lshl_add_u32 v34, v34, 4, v59
	v_and_b32_e32 v35, 31, v35
	v_pk_fma_f32 v[14:15], v[30:31], v[18:19], v[14:15] op_sel_hi:[0,1,1]
	v_mov_b32_e32 v64, v43
	v_lshl_add_u32 v35, v35, 4, v59
	v_pk_fma_f32 v[14:15], v[30:31], v[64:65], v[14:15] op_sel:[1,0,0]
	v_mov_b32_e32 v30, v44
	v_mov_b32_e32 v31, v66
	v_mov_b32_e32 v66, v45
	ds_read_b128 v[42:45], v34
	ds_read_b128 v[76:79], v35 offset:8192
	v_pk_fma_f32 v[14:15], v[32:33], v[30:31], v[14:15] op_sel_hi:[0,1,1]
	v_mov_b32_e32 v32, v33
	v_pk_fma_f32 v[14:15], v[32:33], v[66:67], v[14:15] op_sel_hi:[0,1,1]
	s_waitcnt lgkmcnt(1)
	v_mov_b32_e32 v88, v42
	s_waitcnt lgkmcnt(0)
	v_mov_b32_e32 v89, v76
	v_pk_fma_f32 v[14:15], v[72:73], v[88:89], v[14:15] op_sel_hi:[0,1,1]
	v_mov_b32_e32 v76, v43
	v_pk_fma_f32 v[14:15], v[72:73], v[76:77], v[14:15] op_sel:[1,0,0]
	v_mov_b32_e32 v90, v44
	v_mov_b32_e32 v91, v78
	v_pk_fma_f32 v[14:15], v[74:75], v[90:91], v[14:15] op_sel_hi:[0,1,1]
	v_mov_b32_e32 v32, v75
	v_mov_b32_e32 v78, v45
	v_pk_fma_f32 v[32:33], v[32:33], v[78:79], v[14:15] op_sel_hi:[0,1,1]
	v_pk_fma_f32 v[12:13], v[22:23], v[18:19], v[12:13] op_sel_hi:[0,1,1]
	v_add_u32_e32 v15, 2, v36
	v_pk_fma_f32 v[12:13], v[22:23], v[64:65], v[12:13] op_sel:[1,0,0]
	v_and_b32_e32 v15, 31, v15
	v_pk_fma_f32 v[12:13], v[24:25], v[30:31], v[12:13] op_sel_hi:[0,1,1]
	v_mov_b32_e32 v14, v25
	v_lshl_add_u32 v15, v15, 4, v59
	v_pk_fma_f32 v[12:13], v[14:15], v[66:67], v[12:13] op_sel_hi:[0,1,1]
	v_pk_fma_f32 v[12:13], v[26:27], v[88:89], v[12:13] op_sel_hi:[0,1,1]
	v_add_u32_e32 v22, 18, v36
	v_pk_fma_f32 v[12:13], v[26:27], v[76:77], v[12:13] op_sel:[1,0,0]
	v_and_b32_e32 v22, 31, v22
	v_pk_fma_f32 v[12:13], v[28:29], v[90:91], v[12:13] op_sel_hi:[0,1,1]
	v_mov_b32_e32 v14, v29
	v_pk_fma_f32 v[20:21], v[46:47], v[18:19], v[20:21] op_sel_hi:[0,1,1]
	ds_read_b128 v[72:75], v57 offset:256
	ds_read_b128 v[80:83], v57 offset:272
	v_lshl_add_u32 v22, v22, 4, v59
	v_pk_fma_f32 v[24:25], v[14:15], v[78:79], v[12:13] op_sel_hi:[0,1,1]
	ds_read_b128 v[84:87], v15
	ds_read_b128 v[12:15], v22 offset:8192
	v_pk_fma_f32 v[20:21], v[46:47], v[64:65], v[20:21] op_sel:[1,0,0]
	v_mov_b32_e32 v22, v49
	v_pk_fma_f32 v[20:21], v[48:49], v[30:31], v[20:21] op_sel_hi:[0,1,1]
	v_pk_fma_f32 v[20:21], v[22:23], v[66:67], v[20:21] op_sel_hi:[0,1,1]
	;; [unrolled: 1-line block ×3, first 2 shown]
	v_pk_fma_f32 v[20:21], v[68:69], v[76:77], v[20:21] op_sel:[1,0,0]
	s_waitcnt lgkmcnt(0)
	v_mov_b32_e32 v43, v14
	v_pk_fma_f32 v[26:27], v[70:71], v[90:91], v[20:21] op_sel_hi:[0,1,1]
	v_mov_b32_e32 v14, v71
	ds_read_b128 v[20:23], v57 offset:160
	v_pk_fma_f32 v[28:29], v[14:15], v[78:79], v[26:27] op_sel_hi:[0,1,1]
	v_pk_fma_f32 v[26:27], v[72:73], v[18:19], v[16:17] op_sel_hi:[0,1,1]
	v_pk_fma_f32 v[26:27], v[72:73], v[64:65], v[26:27] op_sel:[1,0,0]
	v_mov_b32_e32 v14, v75
	v_pk_fma_f32 v[26:27], v[74:75], v[30:31], v[26:27] op_sel_hi:[0,1,1]
	v_mov_b32_e32 v48, v84
	v_mov_b32_e32 v49, v12
	v_pk_fma_f32 v[30:31], v[14:15], v[66:67], v[26:27] op_sel_hi:[0,1,1]
	v_pk_fma_f32 v[34:35], v[8:9], v[48:49], v[24:25] op_sel_hi:[0,1,1]
	ds_read_b128 v[24:27], v57 offset:176
	s_waitcnt lgkmcnt(1)
	v_pk_fma_f32 v[44:45], v[20:21], v[48:49], v[28:29] op_sel_hi:[0,1,1]
	v_pk_fma_f32 v[28:29], v[80:81], v[88:89], v[30:31] op_sel_hi:[0,1,1]
	v_pk_fma_f32 v[28:29], v[80:81], v[76:77], v[28:29] op_sel:[1,0,0]
	v_mov_b32_e32 v14, v83
	v_pk_fma_f32 v[28:29], v[82:83], v[90:91], v[28:29] op_sel_hi:[0,1,1]
	v_pk_fma_f32 v[76:77], v[14:15], v[78:79], v[28:29] op_sel_hi:[0,1,1]
	v_add_u32_e32 v14, 3, v36
	v_add_u32_e32 v28, 19, v36
	v_and_b32_e32 v14, 31, v14
	v_and_b32_e32 v28, 31, v28
	v_add_u32_e32 v29, 4, v36
	v_lshl_add_u32 v14, v14, 4, v59
	v_lshl_add_u32 v28, v28, 4, v59
	v_and_b32_e32 v29, 31, v29
	v_add_u32_e32 v46, 20, v36
	ds_read_b128 v[16:19], v57 offset:288
	v_lshl_add_u32 v68, v29, 4, v59
	ds_read_b128 v[64:67], v14
	ds_read_b128 v[28:31], v28 offset:8192
	v_and_b32_e32 v14, 31, v46
	v_lshl_add_u32 v72, v14, 4, v59
	ds_read_b128 v[68:71], v68
	ds_read_b128 v[72:75], v72 offset:8192
	v_mov_b32_e32 v42, v86
	v_mov_b32_e32 v14, v87
	;; [unrolled: 1-line block ×3, first 2 shown]
	s_waitcnt lgkmcnt(1)
	v_mov_b32_e32 v86, v68
	s_waitcnt lgkmcnt(0)
	v_mov_b32_e32 v87, v72
	v_mov_b32_e32 v72, v69
	;; [unrolled: 1-line block ×5, first 2 shown]
	ds_read_b128 v[68:71], v57 offset:304
	v_pk_fma_f32 v[80:81], v[16:17], v[48:49], v[76:77] op_sel_hi:[0,1,1]
	v_pk_fma_f32 v[16:17], v[16:17], v[12:13], v[80:81] op_sel:[1,0,0]
	v_mov_b32_e32 v46, v64
	v_mov_b32_e32 v47, v28
	;; [unrolled: 1-line block ×6, first 2 shown]
	ds_read_b128 v[64:67], v57 offset:416
	v_pk_fma_f32 v[16:17], v[18:19], v[42:43], v[16:17] op_sel_hi:[0,1,1]
	v_mov_b32_e32 v18, v19
	v_pk_fma_f32 v[8:9], v[8:9], v[12:13], v[34:35] op_sel:[1,0,0]
	v_pk_fma_f32 v[16:17], v[18:19], v[14:15], v[16:17] op_sel_hi:[0,1,1]
	ds_read_b128 v[80:83], v57 offset:320
	v_pk_fma_f32 v[8:9], v[10:11], v[42:43], v[8:9] op_sel_hi:[0,1,1]
	v_mov_b32_e32 v10, v11
	s_waitcnt lgkmcnt(2)
	v_pk_fma_f32 v[16:17], v[68:69], v[46:47], v[16:17] op_sel_hi:[0,1,1]
	v_pk_fma_f32 v[8:9], v[10:11], v[14:15], v[8:9] op_sel_hi:[0,1,1]
	v_pk_fma_f32 v[16:17], v[68:69], v[28:29], v[16:17] op_sel:[1,0,0]
	v_pk_fma_f32 v[8:9], v[4:5], v[46:47], v[8:9] op_sel_hi:[0,1,1]
	v_pk_fma_f32 v[16:17], v[70:71], v[84:85], v[16:17] op_sel_hi:[0,1,1]
	v_mov_b32_e32 v18, v71
	v_pk_fma_f32 v[4:5], v[4:5], v[28:29], v[8:9] op_sel:[1,0,0]
	ds_read_b128 v[8:11], v57 offset:64
	s_waitcnt lgkmcnt(2)
	v_pk_fma_f32 v[48:49], v[64:65], v[48:49], v[32:33] op_sel_hi:[0,1,1]
	v_pk_fma_f32 v[32:33], v[18:19], v[30:31], v[16:17] op_sel_hi:[0,1,1]
	s_waitcnt lgkmcnt(1)
	v_pk_fma_f32 v[32:33], v[80:81], v[86:87], v[32:33] op_sel_hi:[0,1,1]
	v_pk_fma_f32 v[32:33], v[80:81], v[72:73], v[32:33] op_sel:[1,0,0]
	v_pk_fma_f32 v[4:5], v[6:7], v[84:85], v[4:5] op_sel_hi:[0,1,1]
	v_mov_b32_e32 v6, v7
	v_pk_fma_f32 v[32:33], v[82:83], v[88:89], v[32:33] op_sel_hi:[0,1,1]
	v_mov_b32_e32 v68, v83
	v_pk_fma_f32 v[4:5], v[6:7], v[30:31], v[4:5] op_sel_hi:[0,1,1]
	v_pk_fma_f32 v[68:69], v[68:69], v[74:75], v[32:33] op_sel_hi:[0,1,1]
	ds_read_b128 v[32:35], v57 offset:80
	s_waitcnt lgkmcnt(1)
	v_pk_fma_f32 v[4:5], v[8:9], v[86:87], v[4:5] op_sel_hi:[0,1,1]
	v_pk_fma_f32 v[4:5], v[8:9], v[72:73], v[4:5] op_sel:[1,0,0]
	v_pk_fma_f32 v[8:9], v[20:21], v[12:13], v[44:45] op_sel:[1,0,0]
	v_pk_fma_f32 v[4:5], v[10:11], v[88:89], v[4:5] op_sel_hi:[0,1,1]
	v_pk_fma_f32 v[8:9], v[22:23], v[42:43], v[8:9] op_sel_hi:[0,1,1]
	v_mov_b32_e32 v10, v23
	v_mov_b32_e32 v6, v11
	v_pk_fma_f32 v[8:9], v[10:11], v[14:15], v[8:9] op_sel_hi:[0,1,1]
	v_add_u32_e32 v10, 5, v36
	v_pk_fma_f32 v[20:21], v[6:7], v[74:75], v[4:5] op_sel_hi:[0,1,1]
	ds_read_b128 v[4:7], v57 offset:192
	v_and_b32_e32 v10, 31, v10
	v_lshl_add_u32 v45, v10, 4, v59
	v_add_u32_e32 v10, 21, v36
	v_pk_fma_f32 v[8:9], v[24:25], v[46:47], v[8:9] op_sel_hi:[0,1,1]
	v_and_b32_e32 v10, 31, v10
	v_pk_fma_f32 v[8:9], v[24:25], v[28:29], v[8:9] op_sel:[1,0,0]
	v_pk_fma_f32 v[12:13], v[64:65], v[12:13], v[48:49] op_sel:[1,0,0]
	v_lshl_add_u32 v48, v10, 4, v59
	v_pk_fma_f32 v[8:9], v[26:27], v[84:85], v[8:9] op_sel_hi:[0,1,1]
	v_mov_b32_e32 v10, v27
	v_pk_fma_f32 v[22:23], v[10:11], v[30:31], v[8:9] op_sel_hi:[0,1,1]
	ds_read_b128 v[8:11], v57 offset:208
	s_waitcnt lgkmcnt(1)
	v_pk_fma_f32 v[22:23], v[4:5], v[86:87], v[22:23] op_sel_hi:[0,1,1]
	v_pk_fma_f32 v[4:5], v[4:5], v[72:73], v[22:23] op_sel:[1,0,0]
	ds_read_b128 v[76:79], v57 offset:432
	ds_read_b128 v[16:19], v57 offset:336
	v_pk_fma_f32 v[22:23], v[6:7], v[88:89], v[4:5] op_sel_hi:[0,1,1]
	v_mov_b32_e32 v44, v7
	ds_read_b128 v[24:27], v45
	ds_read_b128 v[4:7], v48 offset:8192
	v_pk_fma_f32 v[12:13], v[66:67], v[42:43], v[12:13] op_sel_hi:[0,1,1]
	v_mov_b32_e32 v42, v67
	v_pk_fma_f32 v[44:45], v[44:45], v[74:75], v[22:23] op_sel_hi:[0,1,1]
	s_waitcnt lgkmcnt(1)
	v_mov_b32_e32 v22, v25
	s_waitcnt lgkmcnt(0)
	v_mov_b32_e32 v25, v4
	v_pk_fma_f32 v[12:13], v[42:43], v[14:15], v[12:13] op_sel_hi:[0,1,1]
	v_pk_fma_f32 v[70:71], v[8:9], v[24:25], v[44:45] op_sel_hi:[0,1,1]
	;; [unrolled: 1-line block ×3, first 2 shown]
	ds_read_b128 v[12:15], v57 offset:448
	ds_read_b128 v[42:45], v57 offset:464
	v_pk_fma_f32 v[28:29], v[76:77], v[28:29], v[46:47] op_sel:[1,0,0]
	v_mov_b32_e32 v46, v79
	v_pk_fma_f32 v[28:29], v[78:79], v[84:85], v[28:29] op_sel_hi:[0,1,1]
	v_pk_fma_f32 v[28:29], v[46:47], v[30:31], v[28:29] op_sel_hi:[0,1,1]
	s_waitcnt lgkmcnt(1)
	v_pk_fma_f32 v[28:29], v[12:13], v[86:87], v[28:29] op_sel_hi:[0,1,1]
	v_pk_fma_f32 v[12:13], v[12:13], v[72:73], v[28:29] op_sel:[1,0,0]
	v_mov_b32_e32 v23, v5
	v_pk_fma_f32 v[12:13], v[14:15], v[88:89], v[12:13] op_sel_hi:[0,1,1]
	v_mov_b32_e32 v14, v15
	v_pk_fma_f32 v[12:13], v[14:15], v[74:75], v[12:13] op_sel_hi:[0,1,1]
	v_pk_fma_f32 v[20:21], v[32:33], v[24:25], v[20:21] op_sel_hi:[0,1,1]
	;; [unrolled: 1-line block ×3, first 2 shown]
	s_waitcnt lgkmcnt(0)
	v_pk_fma_f32 v[24:25], v[42:43], v[24:25], v[12:13] op_sel_hi:[0,1,1]
	v_add_u32_e32 v12, 6, v36
	v_and_b32_e32 v12, 31, v12
	v_lshl_add_u32 v46, v12, 4, v59
	v_add_u32_e32 v12, 22, v36
	v_and_b32_e32 v12, 31, v12
	v_lshl_add_u32 v64, v12, 4, v59
	;; [unrolled: 3-line block ×4, first 2 shown]
	ds_read_b128 v[12:15], v57 offset:480
	ds_read_b128 v[28:31], v57 offset:496
	ds_read_b128 v[46:49], v46
	ds_read_b128 v[64:67], v64 offset:8192
	v_pk_fma_f32 v[24:25], v[42:43], v[22:23], v[24:25] op_sel:[1,0,0]
	v_mov_b32_e32 v68, v26
	v_mov_b32_e32 v69, v6
	v_pk_fma_f32 v[24:25], v[44:45], v[68:69], v[24:25] op_sel_hi:[0,1,1]
	v_mov_b32_e32 v26, v45
	v_mov_b32_e32 v6, v27
	v_pk_fma_f32 v[24:25], v[26:27], v[6:7], v[24:25] op_sel_hi:[0,1,1]
	s_waitcnt lgkmcnt(1)
	v_mov_b32_e32 v72, v46
	s_waitcnt lgkmcnt(0)
	v_mov_b32_e32 v73, v64
	v_pk_fma_f32 v[24:25], v[12:13], v[72:73], v[24:25] op_sel_hi:[0,1,1]
	v_mov_b32_e32 v64, v47
	v_pk_fma_f32 v[12:13], v[12:13], v[64:65], v[24:25] op_sel:[1,0,0]
	v_mov_b32_e32 v74, v48
	v_mov_b32_e32 v75, v66
	v_pk_fma_f32 v[42:43], v[14:15], v[74:75], v[12:13] op_sel_hi:[0,1,1]
	v_mov_b32_e32 v36, v15
	ds_read_b128 v[12:15], v57 offset:96
	ds_read_b128 v[24:27], v57 offset:112
	v_mov_b32_e32 v66, v49
	v_pk_fma_f32 v[20:21], v[32:33], v[22:23], v[20:21] op_sel:[1,0,0]
	v_pk_fma_f32 v[76:77], v[36:37], v[66:67], v[42:43] op_sel_hi:[0,1,1]
	ds_read_b128 v[42:45], v78
	ds_read_b128 v[46:49], v79 offset:8192
	v_pk_fma_f32 v[20:21], v[34:35], v[68:69], v[20:21] op_sel_hi:[0,1,1]
	v_mov_b32_e32 v32, v35
	v_pk_fma_f32 v[20:21], v[32:33], v[6:7], v[20:21] op_sel_hi:[0,1,1]
	s_waitcnt lgkmcnt(3)
	v_pk_fma_f32 v[20:21], v[12:13], v[72:73], v[20:21] op_sel_hi:[0,1,1]
	v_pk_fma_f32 v[12:13], v[12:13], v[64:65], v[20:21] op_sel:[1,0,0]
	s_waitcnt lgkmcnt(1)
	v_mov_b32_e32 v78, v44
	v_pk_fma_f32 v[12:13], v[14:15], v[74:75], v[12:13] op_sel_hi:[0,1,1]
	v_mov_b32_e32 v14, v15
	v_pk_fma_f32 v[12:13], v[14:15], v[66:67], v[12:13] op_sel_hi:[0,1,1]
	v_mov_b32_e32 v14, v42
	s_waitcnt lgkmcnt(0)
	v_mov_b32_e32 v15, v46
	v_mov_b32_e32 v46, v43
	v_pk_fma_f32 v[12:13], v[24:25], v[14:15], v[12:13] op_sel_hi:[0,1,1]
	v_mov_b32_e32 v79, v48
	v_pk_fma_f32 v[12:13], v[24:25], v[46:47], v[12:13] op_sel:[1,0,0]
	v_pk_fma_f32 v[8:9], v[8:9], v[22:23], v[70:71] op_sel:[1,0,0]
	v_mov_b32_e32 v48, v45
	v_pk_fma_f32 v[12:13], v[26:27], v[78:79], v[12:13] op_sel_hi:[0,1,1]
	v_mov_b32_e32 v20, v27
	v_pk_fma_f32 v[8:9], v[10:11], v[68:69], v[8:9] op_sel_hi:[0,1,1]
	v_mov_b32_e32 v10, v11
	ds_read_b128 v[32:35], v57 offset:224
	ds_read_b128 v[42:45], v57 offset:240
	v_pk_fma_f32 v[12:13], v[20:21], v[48:49], v[12:13] op_sel_hi:[0,1,1]
	v_pk_fma_f32 v[20:21], v[10:11], v[6:7], v[8:9] op_sel_hi:[0,1,1]
	ds_read_b128 v[8:11], v57 offset:352
	ds_read_b128 v[24:27], v57 offset:368
	v_pk_fma_f32 v[4:5], v[16:17], v[22:23], v[4:5] op_sel:[1,0,0]
	v_mov_b32_e32 v16, v19
	v_pk_fma_f32 v[4:5], v[18:19], v[68:69], v[4:5] op_sel_hi:[0,1,1]
	v_pk_fma_f32 v[4:5], v[16:17], v[6:7], v[4:5] op_sel_hi:[0,1,1]
	s_waitcnt lgkmcnt(1)
	v_pk_fma_f32 v[4:5], v[8:9], v[72:73], v[4:5] op_sel_hi:[0,1,1]
	v_pk_fma_f32 v[4:5], v[8:9], v[64:65], v[4:5] op_sel:[1,0,0]
	v_mov_b32_e32 v6, v11
	v_pk_fma_f32 v[4:5], v[10:11], v[74:75], v[4:5] op_sel_hi:[0,1,1]
	v_pk_fma_f32 v[20:21], v[32:33], v[72:73], v[20:21] op_sel_hi:[0,1,1]
	;; [unrolled: 1-line block ×3, first 2 shown]
	v_pk_fma_f32 v[20:21], v[32:33], v[64:65], v[20:21] op_sel:[1,0,0]
	s_waitcnt lgkmcnt(0)
	v_pk_fma_f32 v[4:5], v[24:25], v[14:15], v[4:5] op_sel_hi:[0,1,1]
	v_pk_fma_f32 v[20:21], v[34:35], v[74:75], v[20:21] op_sel_hi:[0,1,1]
	v_mov_b32_e32 v32, v35
	v_pk_fma_f32 v[4:5], v[24:25], v[46:47], v[4:5] op_sel:[1,0,0]
	v_pk_fma_f32 v[20:21], v[32:33], v[66:67], v[20:21] op_sel_hi:[0,1,1]
	v_pk_fma_f32 v[4:5], v[26:27], v[78:79], v[4:5] op_sel_hi:[0,1,1]
	v_mov_b32_e32 v6, v27
	v_pk_fma_f32 v[20:21], v[42:43], v[14:15], v[20:21] op_sel_hi:[0,1,1]
	v_pk_fma_f32 v[16:17], v[6:7], v[48:49], v[4:5] op_sel_hi:[0,1,1]
	;; [unrolled: 1-line block ×3, first 2 shown]
	v_pk_fma_f32 v[20:21], v[42:43], v[46:47], v[20:21] op_sel:[1,0,0]
	v_pk_fma_f32 v[4:5], v[28:29], v[46:47], v[4:5] op_sel:[1,0,0]
	v_pk_fma_f32 v[20:21], v[44:45], v[78:79], v[20:21] op_sel_hi:[0,1,1]
	v_mov_b32_e32 v32, v45
	v_pk_fma_f32 v[4:5], v[30:31], v[78:79], v[4:5] op_sel_hi:[0,1,1]
	v_mov_b32_e32 v6, v31
	v_pk_fma_f32 v[20:21], v[32:33], v[48:49], v[20:21] op_sel_hi:[0,1,1]
	v_pk_fma_f32 v[14:15], v[6:7], v[48:49], v[4:5] op_sel_hi:[0,1,1]
.LBB9_13:                               ;   in Loop: Header=BB9_9 Depth=2
	s_or_b64 exec, exec, s[18:19]
	s_andn2_b64 vcc, exec, s[16:17]
	s_barrier
	s_cbranch_vccnz .LBB9_8
; %bb.14:                               ;   in Loop: Header=BB9_9 Depth=2
	s_waitcnt vmcnt(0)
	ds_write_b128 v56, v[0:3]
	s_waitcnt lgkmcnt(0)
	s_barrier
	s_branch .LBB9_8
.LBB9_15:                               ;   in Loop: Header=BB9_7 Depth=1
	v_add_u32_e32 v4, s3, v58
	v_cmp_gt_f32_e32 vcc, v12, v61
	v_or_b32_e32 v9, 1, v4
	s_add_i32 s14, s3, 32
	v_cndmask_b32_e32 v5, v60, v4, vcc
	v_cndmask_b32_e32 v6, v61, v12, vcc
	v_cmp_gt_f32_e32 vcc, v13, v62
	s_cmpk_gt_u32 s3, 0x3fdf
	v_lshl_add_u64 v[38:39], v[38:39], 0, s[12:13]
	v_cndmask_b32_e32 v7, v63, v4, vcc
	v_cndmask_b32_e32 v8, v62, v13, vcc
	v_cmp_gt_f32_e32 vcc, v20, v6
	s_barrier
	s_nop 0
	v_cndmask_b32_e32 v5, v5, v9, vcc
	v_cndmask_b32_e32 v6, v6, v20, vcc
	v_cmp_gt_f32_e32 vcc, v21, v8
	s_nop 1
	v_cndmask_b32_e32 v7, v7, v9, vcc
	v_cndmask_b32_e32 v8, v8, v21, vcc
	v_or_b32_e32 v9, 2, v4
	v_cmp_gt_f32_e32 vcc, v16, v6
	v_or_b32_e32 v4, 3, v4
	s_nop 0
	v_cndmask_b32_e32 v5, v5, v9, vcc
	v_cndmask_b32_e32 v6, v6, v16, vcc
	v_cmp_gt_f32_e32 vcc, v17, v8
	s_nop 1
	v_cndmask_b32_e32 v7, v7, v9, vcc
	v_cndmask_b32_e32 v8, v8, v17, vcc
	v_cmp_gt_f32_e32 vcc, v14, v6
	;; [unrolled: 4-line block ×3, first 2 shown]
	s_nop 1
	v_cndmask_b32_e32 v63, v7, v4, vcc
	v_cndmask_b32_e32 v62, v8, v15, vcc
	s_cbranch_scc1 .LBB9_17
; %bb.16:                               ;   in Loop: Header=BB9_7 Depth=1
	s_mov_b32 s3, s14
	s_branch .LBB9_7
.LBB9_17:
	s_and_saveexec_b64 s[8:9], s[0:1]
	s_cbranch_execz .LBB9_19
; %bb.18:
	s_waitcnt vmcnt(0)
	v_lshlrev_b32_e32 v0, 2, v52
	v_lshl_or_b32 v0, v53, 7, v0
	ds_write2_b32 v0, v61, v62 offset1:16
	v_add_u32_e32 v0, 0x400, v0
	ds_write2_b32 v0, v60, v63 offset1:16
.LBB9_19:
	s_or_b64 exec, exec, s[8:9]
	v_cmp_eq_u32_e32 vcc, 0, v51
	s_waitcnt lgkmcnt(0)
	s_barrier
	s_and_saveexec_b64 s[0:1], vcc
	s_cbranch_execz .LBB9_21
; %bb.20:
	v_lshlrev_b32_e32 v4, 2, v50
	s_waitcnt vmcnt(0)
	ds_read2_b32 v[0:1], v4 offset1:32
	ds_read2_b32 v[2:3], v4 offset0:64 offset1:96
	v_add_u32_e32 v5, 32, v50
	v_add_u32_e32 v6, 64, v50
	s_waitcnt lgkmcnt(1)
	v_cmp_gt_f32_e32 vcc, v1, v0
	s_nop 1
	v_cndmask_b32_e32 v0, v0, v1, vcc
	v_cndmask_b32_e32 v1, v50, v5, vcc
	s_waitcnt lgkmcnt(0)
	v_cmp_gt_f32_e32 vcc, v2, v0
	s_nop 1
	v_cndmask_b32_e32 v2, v0, v2, vcc
	v_cndmask_b32_e32 v5, v1, v6, vcc
	ds_read2_b32 v[0:1], v4 offset0:128 offset1:160
	v_cmp_gt_f32_e32 vcc, v3, v2
	v_add_u32_e32 v6, 0x60, v50
	s_nop 0
	v_cndmask_b32_e32 v2, v2, v3, vcc
	v_cndmask_b32_e32 v3, v5, v6, vcc
	v_add_u32_e32 v5, 0x80, v50
	s_waitcnt lgkmcnt(0)
	v_cmp_gt_f32_e32 vcc, v0, v2
	v_add_u32_e32 v6, 0xa0, v50
	s_nop 0
	v_cndmask_b32_e32 v0, v2, v0, vcc
	v_cndmask_b32_e32 v5, v3, v5, vcc
	ds_read2_b32 v[2:3], v4 offset0:192 offset1:224
	v_cmp_gt_f32_e32 vcc, v1, v0
	v_add_u32_e32 v4, 0xc0, v50
	s_nop 0
	v_cndmask_b32_e32 v0, v0, v1, vcc
	v_cndmask_b32_e32 v1, v5, v6, vcc
	s_waitcnt lgkmcnt(0)
	v_cmp_gt_f32_e32 vcc, v2, v0
	s_nop 1
	v_cndmask_b32_e32 v0, v0, v2, vcc
	v_cndmask_b32_e32 v1, v1, v4, vcc
	v_add_u32_e32 v2, 0xe0, v50
	v_cmp_gt_f32_e32 vcc, v3, v0
	s_nop 1
	v_cndmask_b32_e32 v4, v0, v3, vcc
	v_cndmask_b32_e32 v0, v1, v2, vcc
	v_lshlrev_b32_e32 v0, 2, v0
	ds_read_b32 v5, v0 offset:1024
	v_lshl_add_u32 v0, s2, 5, v50
	v_ashrrev_i32_e32 v1, 31, v0
	v_lshlrev_b64 v[0:1], 2, v[0:1]
	v_lshl_add_u64 v[2:3], s[4:5], 0, v[0:1]
	v_lshl_add_u64 v[0:1], s[6:7], 0, v[0:1]
	global_store_dword v[2:3], v4, off
	s_waitcnt lgkmcnt(0)
	global_store_dword v[0:1], v5, off
.LBB9_21:
	s_endpgm
	.section	.rodata,"a",@progbits
	.p2align	6, 0x0
	.amdhsa_kernel _Z7Match10PKfS0_PfPi
		.amdhsa_group_segment_fixed_size 20480
		.amdhsa_private_segment_fixed_size 0
		.amdhsa_kernarg_size 32
		.amdhsa_user_sgpr_count 2
		.amdhsa_user_sgpr_dispatch_ptr 0
		.amdhsa_user_sgpr_queue_ptr 0
		.amdhsa_user_sgpr_kernarg_segment_ptr 1
		.amdhsa_user_sgpr_dispatch_id 0
		.amdhsa_user_sgpr_kernarg_preload_length 0
		.amdhsa_user_sgpr_kernarg_preload_offset 0
		.amdhsa_user_sgpr_private_segment_size 0
		.amdhsa_uses_dynamic_stack 0
		.amdhsa_enable_private_segment 0
		.amdhsa_system_sgpr_workgroup_id_x 1
		.amdhsa_system_sgpr_workgroup_id_y 0
		.amdhsa_system_sgpr_workgroup_id_z 0
		.amdhsa_system_sgpr_workgroup_info 0
		.amdhsa_system_vgpr_workitem_id 1
		.amdhsa_next_free_vgpr 92
		.amdhsa_next_free_sgpr 21
		.amdhsa_accum_offset 92
		.amdhsa_reserve_vcc 1
		.amdhsa_float_round_mode_32 0
		.amdhsa_float_round_mode_16_64 0
		.amdhsa_float_denorm_mode_32 3
		.amdhsa_float_denorm_mode_16_64 3
		.amdhsa_dx10_clamp 1
		.amdhsa_ieee_mode 1
		.amdhsa_fp16_overflow 0
		.amdhsa_tg_split 0
		.amdhsa_exception_fp_ieee_invalid_op 0
		.amdhsa_exception_fp_denorm_src 0
		.amdhsa_exception_fp_ieee_div_zero 0
		.amdhsa_exception_fp_ieee_overflow 0
		.amdhsa_exception_fp_ieee_underflow 0
		.amdhsa_exception_fp_ieee_inexact 0
		.amdhsa_exception_int_div_zero 0
	.end_amdhsa_kernel
	.text
.Lfunc_end9:
	.size	_Z7Match10PKfS0_PfPi, .Lfunc_end9-_Z7Match10PKfS0_PfPi
                                        ; -- End function
	.set _Z7Match10PKfS0_PfPi.num_vgpr, 92
	.set _Z7Match10PKfS0_PfPi.num_agpr, 0
	.set _Z7Match10PKfS0_PfPi.numbered_sgpr, 21
	.set _Z7Match10PKfS0_PfPi.num_named_barrier, 0
	.set _Z7Match10PKfS0_PfPi.private_seg_size, 0
	.set _Z7Match10PKfS0_PfPi.uses_vcc, 1
	.set _Z7Match10PKfS0_PfPi.uses_flat_scratch, 0
	.set _Z7Match10PKfS0_PfPi.has_dyn_sized_stack, 0
	.set _Z7Match10PKfS0_PfPi.has_recursion, 0
	.set _Z7Match10PKfS0_PfPi.has_indirect_call, 0
	.section	.AMDGPU.csdata,"",@progbits
; Kernel info:
; codeLenInByte = 3152
; TotalNumSgprs: 27
; NumVgprs: 92
; NumAgprs: 0
; TotalNumVgprs: 92
; ScratchSize: 0
; MemoryBound: 0
; FloatMode: 240
; IeeeMode: 1
; LDSByteSize: 20480 bytes/workgroup (compile time only)
; SGPRBlocks: 3
; VGPRBlocks: 11
; NumSGPRsForWavesPerEU: 27
; NumVGPRsForWavesPerEU: 92
; AccumOffset: 92
; Occupancy: 5
; WaveLimiterHint : 0
; COMPUTE_PGM_RSRC2:SCRATCH_EN: 0
; COMPUTE_PGM_RSRC2:USER_SGPR: 2
; COMPUTE_PGM_RSRC2:TRAP_HANDLER: 0
; COMPUTE_PGM_RSRC2:TGID_X_EN: 1
; COMPUTE_PGM_RSRC2:TGID_Y_EN: 0
; COMPUTE_PGM_RSRC2:TGID_Z_EN: 0
; COMPUTE_PGM_RSRC2:TIDIG_COMP_CNT: 1
; COMPUTE_PGM_RSRC3_GFX90A:ACCUM_OFFSET: 22
; COMPUTE_PGM_RSRC3_GFX90A:TG_SPLIT: 0
	.text
	.p2alignl 6, 3212836864
	.fill 256, 4, 3212836864
	.section	.AMDGPU.gpr_maximums,"",@progbits
	.set amdgpu.max_num_vgpr, 0
	.set amdgpu.max_num_agpr, 0
	.set amdgpu.max_num_sgpr, 0
	.text
	.type	__hip_cuid_64d47c346d439996,@object ; @__hip_cuid_64d47c346d439996
	.section	.bss,"aw",@nobits
	.globl	__hip_cuid_64d47c346d439996
__hip_cuid_64d47c346d439996:
	.byte	0                               ; 0x0
	.size	__hip_cuid_64d47c346d439996, 1

	.ident	"AMD clang version 22.0.0git (https://github.com/RadeonOpenCompute/llvm-project roc-7.2.4 26084 f58b06dce1f9c15707c5f808fd002e18c2accf7e)"
	.section	".note.GNU-stack","",@progbits
	.addrsig
	.addrsig_sym __hip_cuid_64d47c346d439996
	.amdgpu_metadata
---
amdhsa.kernels:
  - .agpr_count:     0
    .args:
      - .actual_access:  read_only
        .address_space:  global
        .offset:         0
        .size:           8
        .value_kind:     global_buffer
      - .actual_access:  read_only
        .address_space:  global
        .offset:         8
        .size:           8
        .value_kind:     global_buffer
      - .actual_access:  write_only
        .address_space:  global
        .offset:         16
        .size:           8
        .value_kind:     global_buffer
      - .actual_access:  write_only
        .address_space:  global
        .offset:         24
        .size:           8
        .value_kind:     global_buffer
    .group_segment_fixed_size: 0
    .kernarg_segment_align: 8
    .kernarg_segment_size: 32
    .language:       OpenCL C
    .language_version:
      - 2
      - 0
    .max_flat_workgroup_size: 1024
    .name:           _Z6Match1PKfS0_PfPi
    .private_segment_fixed_size: 0
    .sgpr_count:     26
    .sgpr_spill_count: 0
    .symbol:         _Z6Match1PKfS0_PfPi.kd
    .uniform_work_group_size: 1
    .uses_dynamic_stack: false
    .vgpr_count:     16
    .vgpr_spill_count: 0
    .wavefront_size: 64
  - .agpr_count:     0
    .args:
      - .actual_access:  read_only
        .address_space:  global
        .offset:         0
        .size:           8
        .value_kind:     global_buffer
      - .actual_access:  read_only
        .address_space:  global
        .offset:         8
        .size:           8
        .value_kind:     global_buffer
      - .actual_access:  write_only
        .address_space:  global
        .offset:         16
        .size:           8
        .value_kind:     global_buffer
      - .actual_access:  write_only
        .address_space:  global
        .offset:         24
        .size:           8
        .value_kind:     global_buffer
    .group_segment_fixed_size: 17408
    .kernarg_segment_align: 8
    .kernarg_segment_size: 32
    .language:       OpenCL C
    .language_version:
      - 2
      - 0
    .max_flat_workgroup_size: 1024
    .name:           _Z6Match2PKfS0_PfPi
    .private_segment_fixed_size: 0
    .sgpr_count:     23
    .sgpr_spill_count: 0
    .symbol:         _Z6Match2PKfS0_PfPi.kd
    .uniform_work_group_size: 1
    .uses_dynamic_stack: false
    .vgpr_count:     46
    .vgpr_spill_count: 0
    .wavefront_size: 64
  - .agpr_count:     0
    .args:
      - .actual_access:  read_only
        .address_space:  global
        .offset:         0
        .size:           8
        .value_kind:     global_buffer
      - .actual_access:  read_only
        .address_space:  global
        .offset:         8
        .size:           8
        .value_kind:     global_buffer
      - .actual_access:  write_only
        .address_space:  global
        .offset:         16
        .size:           8
        .value_kind:     global_buffer
      - .actual_access:  write_only
        .address_space:  global
        .offset:         24
        .size:           8
        .value_kind:     global_buffer
    .group_segment_fixed_size: 17472
    .kernarg_segment_align: 8
    .kernarg_segment_size: 32
    .language:       OpenCL C
    .language_version:
      - 2
      - 0
    .max_flat_workgroup_size: 1024
    .name:           _Z6Match3PKfS0_PfPi
    .private_segment_fixed_size: 0
    .sgpr_count:     23
    .sgpr_spill_count: 0
    .symbol:         _Z6Match3PKfS0_PfPi.kd
    .uniform_work_group_size: 1
    .uses_dynamic_stack: false
    .vgpr_count:     46
    .vgpr_spill_count: 0
    .wavefront_size: 64
  - .agpr_count:     0
    .args:
      - .actual_access:  read_only
        .address_space:  global
        .offset:         0
        .size:           8
        .value_kind:     global_buffer
      - .actual_access:  read_only
        .address_space:  global
        .offset:         8
        .size:           8
        .value_kind:     global_buffer
      - .actual_access:  write_only
        .address_space:  global
        .offset:         16
        .size:           8
        .value_kind:     global_buffer
      - .actual_access:  write_only
        .address_space:  global
        .offset:         24
        .size:           8
        .value_kind:     global_buffer
    .group_segment_fixed_size: 17664
    .kernarg_segment_align: 8
    .kernarg_segment_size: 32
    .language:       OpenCL C
    .language_version:
      - 2
      - 0
    .max_flat_workgroup_size: 1024
    .name:           _Z6Match4PKfS0_PfPi
    .private_segment_fixed_size: 0
    .sgpr_count:     24
    .sgpr_spill_count: 0
    .symbol:         _Z6Match4PKfS0_PfPi.kd
    .uniform_work_group_size: 1
    .uses_dynamic_stack: false
    .vgpr_count:     46
    .vgpr_spill_count: 0
    .wavefront_size: 64
  - .agpr_count:     0
    .args:
      - .actual_access:  read_only
        .address_space:  global
        .offset:         0
        .size:           8
        .value_kind:     global_buffer
      - .actual_access:  read_only
        .address_space:  global
        .offset:         8
        .size:           8
        .value_kind:     global_buffer
      - .actual_access:  write_only
        .address_space:  global
        .offset:         16
        .size:           8
        .value_kind:     global_buffer
      - .actual_access:  write_only
        .address_space:  global
        .offset:         24
        .size:           8
        .value_kind:     global_buffer
    .group_segment_fixed_size: 17664
    .kernarg_segment_align: 8
    .kernarg_segment_size: 32
    .language:       OpenCL C
    .language_version:
      - 2
      - 0
    .max_flat_workgroup_size: 1024
    .name:           _Z6Match5PKfS0_PfPi
    .private_segment_fixed_size: 0
    .sgpr_count:     26
    .sgpr_spill_count: 0
    .symbol:         _Z6Match5PKfS0_PfPi.kd
    .uniform_work_group_size: 1
    .uses_dynamic_stack: false
    .vgpr_count:     64
    .vgpr_spill_count: 0
    .wavefront_size: 64
  - .agpr_count:     0
    .args:
      - .actual_access:  read_only
        .address_space:  global
        .offset:         0
        .size:           8
        .value_kind:     global_buffer
      - .actual_access:  read_only
        .address_space:  global
        .offset:         8
        .size:           8
        .value_kind:     global_buffer
      - .actual_access:  write_only
        .address_space:  global
        .offset:         16
        .size:           8
        .value_kind:     global_buffer
      - .actual_access:  write_only
        .address_space:  global
        .offset:         24
        .size:           8
        .value_kind:     global_buffer
    .group_segment_fixed_size: 16640
    .kernarg_segment_align: 8
    .kernarg_segment_size: 32
    .language:       OpenCL C
    .language_version:
      - 2
      - 0
    .max_flat_workgroup_size: 1024
    .name:           _Z6Match6PKfS0_PfPi
    .private_segment_fixed_size: 0
    .sgpr_count:     24
    .sgpr_spill_count: 0
    .symbol:         _Z6Match6PKfS0_PfPi.kd
    .uniform_work_group_size: 1
    .uses_dynamic_stack: false
    .vgpr_count:     64
    .vgpr_spill_count: 0
    .wavefront_size: 64
  - .agpr_count:     0
    .args:
      - .actual_access:  read_only
        .address_space:  global
        .offset:         0
        .size:           8
        .value_kind:     global_buffer
      - .actual_access:  read_only
        .address_space:  global
        .offset:         8
        .size:           8
        .value_kind:     global_buffer
      - .actual_access:  write_only
        .address_space:  global
        .offset:         16
        .size:           8
        .value_kind:     global_buffer
      - .actual_access:  write_only
        .address_space:  global
        .offset:         24
        .size:           8
        .value_kind:     global_buffer
    .group_segment_fixed_size: 32768
    .kernarg_segment_align: 8
    .kernarg_segment_size: 32
    .language:       OpenCL C
    .language_version:
      - 2
      - 0
    .max_flat_workgroup_size: 1024
    .name:           _Z6Match7PKfS0_PfPi
    .private_segment_fixed_size: 0
    .sgpr_count:     22
    .sgpr_spill_count: 0
    .symbol:         _Z6Match7PKfS0_PfPi.kd
    .uniform_work_group_size: 1
    .uses_dynamic_stack: false
    .vgpr_count:     54
    .vgpr_spill_count: 0
    .wavefront_size: 64
  - .agpr_count:     0
    .args:
      - .actual_access:  read_only
        .address_space:  global
        .offset:         0
        .size:           8
        .value_kind:     global_buffer
      - .actual_access:  read_only
        .address_space:  global
        .offset:         8
        .size:           8
        .value_kind:     global_buffer
      - .actual_access:  write_only
        .address_space:  global
        .offset:         16
        .size:           8
        .value_kind:     global_buffer
      - .actual_access:  write_only
        .address_space:  global
        .offset:         24
        .size:           8
        .value_kind:     global_buffer
    .group_segment_fixed_size: 32768
    .kernarg_segment_align: 8
    .kernarg_segment_size: 32
    .language:       OpenCL C
    .language_version:
      - 2
      - 0
    .max_flat_workgroup_size: 1024
    .name:           _Z6Match8PKfS0_PfPi
    .private_segment_fixed_size: 0
    .sgpr_count:     24
    .sgpr_spill_count: 0
    .symbol:         _Z6Match8PKfS0_PfPi.kd
    .uniform_work_group_size: 1
    .uses_dynamic_stack: false
    .vgpr_count:     47
    .vgpr_spill_count: 0
    .wavefront_size: 64
  - .agpr_count:     0
    .args:
      - .actual_access:  read_only
        .address_space:  global
        .offset:         0
        .size:           8
        .value_kind:     global_buffer
      - .actual_access:  read_only
        .address_space:  global
        .offset:         8
        .size:           8
        .value_kind:     global_buffer
      - .actual_access:  write_only
        .address_space:  global
        .offset:         16
        .size:           8
        .value_kind:     global_buffer
      - .actual_access:  write_only
        .address_space:  global
        .offset:         24
        .size:           8
        .value_kind:     global_buffer
    .group_segment_fixed_size: 32768
    .kernarg_segment_align: 8
    .kernarg_segment_size: 32
    .language:       OpenCL C
    .language_version:
      - 2
      - 0
    .max_flat_workgroup_size: 1024
    .name:           _Z6Match9PKfS0_PfPi
    .private_segment_fixed_size: 0
    .sgpr_count:     32
    .sgpr_spill_count: 0
    .symbol:         _Z6Match9PKfS0_PfPi.kd
    .uniform_work_group_size: 1
    .uses_dynamic_stack: false
    .vgpr_count:     49
    .vgpr_spill_count: 0
    .wavefront_size: 64
  - .agpr_count:     0
    .args:
      - .actual_access:  read_only
        .address_space:  global
        .offset:         0
        .size:           8
        .value_kind:     global_buffer
      - .actual_access:  read_only
        .address_space:  global
        .offset:         8
        .size:           8
        .value_kind:     global_buffer
      - .actual_access:  write_only
        .address_space:  global
        .offset:         16
        .size:           8
        .value_kind:     global_buffer
      - .actual_access:  write_only
        .address_space:  global
        .offset:         24
        .size:           8
        .value_kind:     global_buffer
    .group_segment_fixed_size: 20480
    .kernarg_segment_align: 8
    .kernarg_segment_size: 32
    .language:       OpenCL C
    .language_version:
      - 2
      - 0
    .max_flat_workgroup_size: 1024
    .name:           _Z7Match10PKfS0_PfPi
    .private_segment_fixed_size: 0
    .sgpr_count:     27
    .sgpr_spill_count: 0
    .symbol:         _Z7Match10PKfS0_PfPi.kd
    .uniform_work_group_size: 1
    .uses_dynamic_stack: false
    .vgpr_count:     92
    .vgpr_spill_count: 0
    .wavefront_size: 64
amdhsa.target:   amdgcn-amd-amdhsa--gfx950
amdhsa.version:
  - 1
  - 2
...

	.end_amdgpu_metadata
